;; amdgpu-corpus repo=ROCm/rocFFT kind=compiled arch=gfx1100 opt=O3
	.text
	.amdgcn_target "amdgcn-amd-amdhsa--gfx1100"
	.amdhsa_code_object_version 6
	.protected	fft_rtc_fwd_len2040_factors_17_4_3_10_wgs_170_tpt_170_halfLds_dp_op_CI_CI_unitstride_sbrr_C2R_dirReg ; -- Begin function fft_rtc_fwd_len2040_factors_17_4_3_10_wgs_170_tpt_170_halfLds_dp_op_CI_CI_unitstride_sbrr_C2R_dirReg
	.globl	fft_rtc_fwd_len2040_factors_17_4_3_10_wgs_170_tpt_170_halfLds_dp_op_CI_CI_unitstride_sbrr_C2R_dirReg
	.p2align	8
	.type	fft_rtc_fwd_len2040_factors_17_4_3_10_wgs_170_tpt_170_halfLds_dp_op_CI_CI_unitstride_sbrr_C2R_dirReg,@function
fft_rtc_fwd_len2040_factors_17_4_3_10_wgs_170_tpt_170_halfLds_dp_op_CI_CI_unitstride_sbrr_C2R_dirReg: ; @fft_rtc_fwd_len2040_factors_17_4_3_10_wgs_170_tpt_170_halfLds_dp_op_CI_CI_unitstride_sbrr_C2R_dirReg
; %bb.0:
	s_clause 0x2
	s_load_b128 s[8:11], s[0:1], 0x0
	s_load_b128 s[4:7], s[0:1], 0x58
	;; [unrolled: 1-line block ×3, first 2 shown]
	v_mul_u32_u24_e32 v1, 0x182, v0
	v_mov_b32_e32 v3, 0
	s_delay_alu instid0(VALU_DEP_2) | instskip(NEXT) | instid1(VALU_DEP_1)
	v_lshrrev_b32_e32 v1, 16, v1
	v_add_nc_u32_e32 v5, s15, v1
	v_mov_b32_e32 v1, 0
	v_mov_b32_e32 v2, 0
	;; [unrolled: 1-line block ×3, first 2 shown]
	s_waitcnt lgkmcnt(0)
	v_cmp_lt_u64_e64 s2, s[10:11], 2
	s_delay_alu instid0(VALU_DEP_1)
	s_and_b32 vcc_lo, exec_lo, s2
	s_cbranch_vccnz .LBB0_8
; %bb.1:
	s_load_b64 s[2:3], s[0:1], 0x10
	v_mov_b32_e32 v1, 0
	v_mov_b32_e32 v2, 0
	s_add_u32 s12, s18, 8
	s_addc_u32 s13, s19, 0
	s_add_u32 s14, s16, 8
	s_addc_u32 s15, s17, 0
	v_dual_mov_b32 v89, v2 :: v_dual_mov_b32 v88, v1
	s_mov_b64 s[22:23], 1
	s_waitcnt lgkmcnt(0)
	s_add_u32 s20, s2, 8
	s_addc_u32 s21, s3, 0
.LBB0_2:                                ; =>This Inner Loop Header: Depth=1
	s_load_b64 s[24:25], s[20:21], 0x0
                                        ; implicit-def: $vgpr92_vgpr93
	s_mov_b32 s2, exec_lo
	s_waitcnt lgkmcnt(0)
	v_or_b32_e32 v4, s25, v6
	s_delay_alu instid0(VALU_DEP_1)
	v_cmpx_ne_u64_e32 0, v[3:4]
	s_xor_b32 s3, exec_lo, s2
	s_cbranch_execz .LBB0_4
; %bb.3:                                ;   in Loop: Header=BB0_2 Depth=1
	v_cvt_f32_u32_e32 v4, s24
	v_cvt_f32_u32_e32 v7, s25
	s_sub_u32 s2, 0, s24
	s_subb_u32 s26, 0, s25
	s_delay_alu instid0(VALU_DEP_1) | instskip(NEXT) | instid1(VALU_DEP_1)
	v_fmac_f32_e32 v4, 0x4f800000, v7
	v_rcp_f32_e32 v4, v4
	s_waitcnt_depctr 0xfff
	v_mul_f32_e32 v4, 0x5f7ffffc, v4
	s_delay_alu instid0(VALU_DEP_1) | instskip(NEXT) | instid1(VALU_DEP_1)
	v_mul_f32_e32 v7, 0x2f800000, v4
	v_trunc_f32_e32 v7, v7
	s_delay_alu instid0(VALU_DEP_1) | instskip(SKIP_1) | instid1(VALU_DEP_2)
	v_fmac_f32_e32 v4, 0xcf800000, v7
	v_cvt_u32_f32_e32 v7, v7
	v_cvt_u32_f32_e32 v4, v4
	s_delay_alu instid0(VALU_DEP_2) | instskip(NEXT) | instid1(VALU_DEP_2)
	v_mul_lo_u32 v8, s2, v7
	v_mul_hi_u32 v9, s2, v4
	v_mul_lo_u32 v10, s26, v4
	s_delay_alu instid0(VALU_DEP_2) | instskip(SKIP_1) | instid1(VALU_DEP_2)
	v_add_nc_u32_e32 v8, v9, v8
	v_mul_lo_u32 v9, s2, v4
	v_add_nc_u32_e32 v8, v8, v10
	s_delay_alu instid0(VALU_DEP_2) | instskip(NEXT) | instid1(VALU_DEP_2)
	v_mul_hi_u32 v10, v4, v9
	v_mul_lo_u32 v11, v4, v8
	v_mul_hi_u32 v12, v4, v8
	v_mul_hi_u32 v13, v7, v9
	v_mul_lo_u32 v9, v7, v9
	v_mul_hi_u32 v14, v7, v8
	v_mul_lo_u32 v8, v7, v8
	v_add_co_u32 v10, vcc_lo, v10, v11
	v_add_co_ci_u32_e32 v11, vcc_lo, 0, v12, vcc_lo
	s_delay_alu instid0(VALU_DEP_2) | instskip(NEXT) | instid1(VALU_DEP_2)
	v_add_co_u32 v9, vcc_lo, v10, v9
	v_add_co_ci_u32_e32 v9, vcc_lo, v11, v13, vcc_lo
	v_add_co_ci_u32_e32 v10, vcc_lo, 0, v14, vcc_lo
	s_delay_alu instid0(VALU_DEP_2) | instskip(NEXT) | instid1(VALU_DEP_2)
	v_add_co_u32 v8, vcc_lo, v9, v8
	v_add_co_ci_u32_e32 v9, vcc_lo, 0, v10, vcc_lo
	s_delay_alu instid0(VALU_DEP_2) | instskip(NEXT) | instid1(VALU_DEP_2)
	v_add_co_u32 v4, vcc_lo, v4, v8
	v_add_co_ci_u32_e32 v7, vcc_lo, v7, v9, vcc_lo
	s_delay_alu instid0(VALU_DEP_2) | instskip(SKIP_1) | instid1(VALU_DEP_3)
	v_mul_hi_u32 v8, s2, v4
	v_mul_lo_u32 v10, s26, v4
	v_mul_lo_u32 v9, s2, v7
	s_delay_alu instid0(VALU_DEP_1) | instskip(SKIP_1) | instid1(VALU_DEP_2)
	v_add_nc_u32_e32 v8, v8, v9
	v_mul_lo_u32 v9, s2, v4
	v_add_nc_u32_e32 v8, v8, v10
	s_delay_alu instid0(VALU_DEP_2) | instskip(NEXT) | instid1(VALU_DEP_2)
	v_mul_hi_u32 v10, v4, v9
	v_mul_lo_u32 v11, v4, v8
	v_mul_hi_u32 v12, v4, v8
	v_mul_hi_u32 v13, v7, v9
	v_mul_lo_u32 v9, v7, v9
	v_mul_hi_u32 v14, v7, v8
	v_mul_lo_u32 v8, v7, v8
	v_add_co_u32 v10, vcc_lo, v10, v11
	v_add_co_ci_u32_e32 v11, vcc_lo, 0, v12, vcc_lo
	s_delay_alu instid0(VALU_DEP_2) | instskip(NEXT) | instid1(VALU_DEP_2)
	v_add_co_u32 v9, vcc_lo, v10, v9
	v_add_co_ci_u32_e32 v9, vcc_lo, v11, v13, vcc_lo
	v_add_co_ci_u32_e32 v10, vcc_lo, 0, v14, vcc_lo
	s_delay_alu instid0(VALU_DEP_2) | instskip(NEXT) | instid1(VALU_DEP_2)
	v_add_co_u32 v8, vcc_lo, v9, v8
	v_add_co_ci_u32_e32 v9, vcc_lo, 0, v10, vcc_lo
	s_delay_alu instid0(VALU_DEP_2) | instskip(NEXT) | instid1(VALU_DEP_2)
	v_add_co_u32 v4, vcc_lo, v4, v8
	v_add_co_ci_u32_e32 v13, vcc_lo, v7, v9, vcc_lo
	s_delay_alu instid0(VALU_DEP_2) | instskip(SKIP_1) | instid1(VALU_DEP_3)
	v_mul_hi_u32 v14, v5, v4
	v_mad_u64_u32 v[9:10], null, v6, v4, 0
	v_mad_u64_u32 v[7:8], null, v5, v13, 0
	;; [unrolled: 1-line block ×3, first 2 shown]
	s_delay_alu instid0(VALU_DEP_2) | instskip(NEXT) | instid1(VALU_DEP_3)
	v_add_co_u32 v4, vcc_lo, v14, v7
	v_add_co_ci_u32_e32 v7, vcc_lo, 0, v8, vcc_lo
	s_delay_alu instid0(VALU_DEP_2) | instskip(NEXT) | instid1(VALU_DEP_2)
	v_add_co_u32 v4, vcc_lo, v4, v9
	v_add_co_ci_u32_e32 v4, vcc_lo, v7, v10, vcc_lo
	v_add_co_ci_u32_e32 v7, vcc_lo, 0, v12, vcc_lo
	s_delay_alu instid0(VALU_DEP_2) | instskip(NEXT) | instid1(VALU_DEP_2)
	v_add_co_u32 v4, vcc_lo, v4, v11
	v_add_co_ci_u32_e32 v9, vcc_lo, 0, v7, vcc_lo
	s_delay_alu instid0(VALU_DEP_2) | instskip(SKIP_1) | instid1(VALU_DEP_3)
	v_mul_lo_u32 v10, s25, v4
	v_mad_u64_u32 v[7:8], null, s24, v4, 0
	v_mul_lo_u32 v11, s24, v9
	s_delay_alu instid0(VALU_DEP_2) | instskip(NEXT) | instid1(VALU_DEP_2)
	v_sub_co_u32 v7, vcc_lo, v5, v7
	v_add3_u32 v8, v8, v11, v10
	s_delay_alu instid0(VALU_DEP_1) | instskip(NEXT) | instid1(VALU_DEP_1)
	v_sub_nc_u32_e32 v10, v6, v8
	v_subrev_co_ci_u32_e64 v10, s2, s25, v10, vcc_lo
	v_add_co_u32 v11, s2, v4, 2
	s_delay_alu instid0(VALU_DEP_1) | instskip(SKIP_3) | instid1(VALU_DEP_3)
	v_add_co_ci_u32_e64 v12, s2, 0, v9, s2
	v_sub_co_u32 v13, s2, v7, s24
	v_sub_co_ci_u32_e32 v8, vcc_lo, v6, v8, vcc_lo
	v_subrev_co_ci_u32_e64 v10, s2, 0, v10, s2
	v_cmp_le_u32_e32 vcc_lo, s24, v13
	s_delay_alu instid0(VALU_DEP_3) | instskip(SKIP_1) | instid1(VALU_DEP_4)
	v_cmp_eq_u32_e64 s2, s25, v8
	v_cndmask_b32_e64 v13, 0, -1, vcc_lo
	v_cmp_le_u32_e32 vcc_lo, s25, v10
	v_cndmask_b32_e64 v14, 0, -1, vcc_lo
	v_cmp_le_u32_e32 vcc_lo, s24, v7
	;; [unrolled: 2-line block ×3, first 2 shown]
	v_cndmask_b32_e64 v15, 0, -1, vcc_lo
	v_cmp_eq_u32_e32 vcc_lo, s25, v10
	s_delay_alu instid0(VALU_DEP_2) | instskip(SKIP_3) | instid1(VALU_DEP_3)
	v_cndmask_b32_e64 v7, v15, v7, s2
	v_cndmask_b32_e32 v10, v14, v13, vcc_lo
	v_add_co_u32 v13, vcc_lo, v4, 1
	v_add_co_ci_u32_e32 v14, vcc_lo, 0, v9, vcc_lo
	v_cmp_ne_u32_e32 vcc_lo, 0, v10
	s_delay_alu instid0(VALU_DEP_2) | instskip(NEXT) | instid1(VALU_DEP_4)
	v_cndmask_b32_e32 v8, v14, v12, vcc_lo
	v_cndmask_b32_e32 v10, v13, v11, vcc_lo
	v_cmp_ne_u32_e32 vcc_lo, 0, v7
	s_delay_alu instid0(VALU_DEP_2)
	v_dual_cndmask_b32 v93, v9, v8 :: v_dual_cndmask_b32 v92, v4, v10
.LBB0_4:                                ;   in Loop: Header=BB0_2 Depth=1
	s_and_not1_saveexec_b32 s2, s3
	s_cbranch_execz .LBB0_6
; %bb.5:                                ;   in Loop: Header=BB0_2 Depth=1
	v_cvt_f32_u32_e32 v4, s24
	s_sub_i32 s3, 0, s24
	v_mov_b32_e32 v93, v3
	s_delay_alu instid0(VALU_DEP_2) | instskip(SKIP_2) | instid1(VALU_DEP_1)
	v_rcp_iflag_f32_e32 v4, v4
	s_waitcnt_depctr 0xfff
	v_mul_f32_e32 v4, 0x4f7ffffe, v4
	v_cvt_u32_f32_e32 v4, v4
	s_delay_alu instid0(VALU_DEP_1) | instskip(NEXT) | instid1(VALU_DEP_1)
	v_mul_lo_u32 v7, s3, v4
	v_mul_hi_u32 v7, v4, v7
	s_delay_alu instid0(VALU_DEP_1) | instskip(NEXT) | instid1(VALU_DEP_1)
	v_add_nc_u32_e32 v4, v4, v7
	v_mul_hi_u32 v4, v5, v4
	s_delay_alu instid0(VALU_DEP_1) | instskip(SKIP_1) | instid1(VALU_DEP_2)
	v_mul_lo_u32 v7, v4, s24
	v_add_nc_u32_e32 v8, 1, v4
	v_sub_nc_u32_e32 v7, v5, v7
	s_delay_alu instid0(VALU_DEP_1) | instskip(SKIP_1) | instid1(VALU_DEP_2)
	v_subrev_nc_u32_e32 v9, s24, v7
	v_cmp_le_u32_e32 vcc_lo, s24, v7
	v_dual_cndmask_b32 v7, v7, v9 :: v_dual_cndmask_b32 v4, v4, v8
	s_delay_alu instid0(VALU_DEP_1) | instskip(NEXT) | instid1(VALU_DEP_2)
	v_cmp_le_u32_e32 vcc_lo, s24, v7
	v_add_nc_u32_e32 v8, 1, v4
	s_delay_alu instid0(VALU_DEP_1)
	v_cndmask_b32_e32 v92, v4, v8, vcc_lo
.LBB0_6:                                ;   in Loop: Header=BB0_2 Depth=1
	s_or_b32 exec_lo, exec_lo, s2
	s_delay_alu instid0(VALU_DEP_1) | instskip(NEXT) | instid1(VALU_DEP_2)
	v_mul_lo_u32 v4, v93, s24
	v_mul_lo_u32 v9, v92, s25
	s_load_b64 s[2:3], s[14:15], 0x0
	v_mad_u64_u32 v[7:8], null, v92, s24, 0
	s_load_b64 s[24:25], s[12:13], 0x0
	s_add_u32 s22, s22, 1
	s_addc_u32 s23, s23, 0
	s_add_u32 s12, s12, 8
	s_addc_u32 s13, s13, 0
	s_add_u32 s14, s14, 8
	s_delay_alu instid0(VALU_DEP_1) | instskip(SKIP_3) | instid1(VALU_DEP_2)
	v_add3_u32 v4, v8, v9, v4
	v_sub_co_u32 v8, vcc_lo, v5, v7
	s_addc_u32 s15, s15, 0
	s_add_u32 s20, s20, 8
	v_sub_co_ci_u32_e32 v6, vcc_lo, v6, v4, vcc_lo
	s_addc_u32 s21, s21, 0
	s_waitcnt lgkmcnt(0)
	s_delay_alu instid0(VALU_DEP_1)
	v_mul_lo_u32 v9, s2, v6
	v_mul_lo_u32 v10, s3, v8
	v_mad_u64_u32 v[4:5], null, s2, v8, v[1:2]
	v_mul_lo_u32 v11, s24, v6
	v_mul_lo_u32 v12, s25, v8
	v_mad_u64_u32 v[6:7], null, s24, v8, v[88:89]
	v_cmp_ge_u64_e64 s2, s[22:23], s[10:11]
	v_add3_u32 v2, v10, v5, v9
	s_delay_alu instid0(VALU_DEP_3) | instskip(NEXT) | instid1(VALU_DEP_4)
	v_dual_mov_b32 v1, v4 :: v_dual_mov_b32 v88, v6
	v_add3_u32 v89, v12, v7, v11
	s_delay_alu instid0(VALU_DEP_4)
	s_and_b32 vcc_lo, exec_lo, s2
	s_cbranch_vccnz .LBB0_9
; %bb.7:                                ;   in Loop: Header=BB0_2 Depth=1
	v_dual_mov_b32 v5, v92 :: v_dual_mov_b32 v6, v93
	s_branch .LBB0_2
.LBB0_8:
	v_dual_mov_b32 v89, v2 :: v_dual_mov_b32 v88, v1
	v_dual_mov_b32 v93, v6 :: v_dual_mov_b32 v92, v5
.LBB0_9:
	s_load_b64 s[0:1], s[0:1], 0x28
	v_mul_hi_u32 v3, 0x1818182, v0
	s_lshl_b64 s[10:11], s[10:11], 3
                                        ; implicit-def: $vgpr90
	s_delay_alu instid0(SALU_CYCLE_1) | instskip(SKIP_4) | instid1(VALU_DEP_1)
	s_add_u32 s2, s18, s10
	s_addc_u32 s3, s19, s11
	s_waitcnt lgkmcnt(0)
	v_cmp_gt_u64_e32 vcc_lo, s[0:1], v[92:93]
	v_cmp_le_u64_e64 s0, s[0:1], v[92:93]
	s_and_saveexec_b32 s1, s0
	s_delay_alu instid0(SALU_CYCLE_1)
	s_xor_b32 s0, exec_lo, s1
; %bb.10:
	v_mul_u32_u24_e32 v1, 0xaa, v3
                                        ; implicit-def: $vgpr3
	s_delay_alu instid0(VALU_DEP_1)
	v_sub_nc_u32_e32 v90, v0, v1
                                        ; implicit-def: $vgpr0
                                        ; implicit-def: $vgpr1_vgpr2
; %bb.11:
	s_or_saveexec_b32 s1, s0
	s_load_b64 s[2:3], s[2:3], 0x0
	s_xor_b32 exec_lo, exec_lo, s1
	s_cbranch_execz .LBB0_15
; %bb.12:
	s_add_u32 s10, s16, s10
	s_addc_u32 s11, s17, s11
	v_lshlrev_b64 v[1:2], 4, v[1:2]
	s_load_b64 s[10:11], s[10:11], 0x0
	s_waitcnt lgkmcnt(0)
	v_mul_lo_u32 v6, s11, v92
	v_mul_lo_u32 v7, s10, v93
	v_mad_u64_u32 v[4:5], null, s10, v92, 0
	s_delay_alu instid0(VALU_DEP_1) | instskip(SKIP_1) | instid1(VALU_DEP_2)
	v_add3_u32 v5, v5, v7, v6
	v_mul_u32_u24_e32 v6, 0xaa, v3
	v_lshlrev_b64 v[3:4], 4, v[4:5]
	s_delay_alu instid0(VALU_DEP_2) | instskip(NEXT) | instid1(VALU_DEP_1)
	v_sub_nc_u32_e32 v90, v0, v6
	v_lshlrev_b32_e32 v50, 4, v90
	s_delay_alu instid0(VALU_DEP_3) | instskip(NEXT) | instid1(VALU_DEP_1)
	v_add_co_u32 v0, s0, s4, v3
	v_add_co_ci_u32_e64 v3, s0, s5, v4, s0
	s_mov_b32 s4, exec_lo
	s_delay_alu instid0(VALU_DEP_2) | instskip(NEXT) | instid1(VALU_DEP_1)
	v_add_co_u32 v0, s0, v0, v1
	v_add_co_ci_u32_e64 v1, s0, v3, v2, s0
	s_delay_alu instid0(VALU_DEP_2) | instskip(NEXT) | instid1(VALU_DEP_1)
	v_add_co_u32 v10, s0, v0, v50
	v_add_co_ci_u32_e64 v11, s0, 0, v1, s0
	s_clause 0x1
	global_load_b128 v[2:5], v[10:11], off
	global_load_b128 v[6:9], v[10:11], off offset:2720
	v_add_co_u32 v14, s0, 0x1000, v10
	s_delay_alu instid0(VALU_DEP_1) | instskip(SKIP_1) | instid1(VALU_DEP_1)
	v_add_co_ci_u32_e64 v15, s0, 0, v11, s0
	v_add_co_u32 v18, s0, 0x2000, v10
	v_add_co_ci_u32_e64 v19, s0, 0, v11, s0
	v_add_co_u32 v26, s0, 0x3000, v10
	s_delay_alu instid0(VALU_DEP_1) | instskip(SKIP_1) | instid1(VALU_DEP_1)
	v_add_co_ci_u32_e64 v27, s0, 0, v11, s0
	v_add_co_u32 v30, s0, 0x4000, v10
	v_add_co_ci_u32_e64 v31, s0, 0, v11, s0
	;; [unrolled: 5-line block ×3, first 2 shown]
	v_add_co_u32 v46, s0, 0x7000, v10
	s_delay_alu instid0(VALU_DEP_1)
	v_add_co_ci_u32_e64 v47, s0, 0, v11, s0
	s_clause 0x9
	global_load_b128 v[10:13], v[14:15], off offset:1344
	global_load_b128 v[14:17], v[14:15], off offset:4064
	;; [unrolled: 1-line block ×10, first 2 shown]
	v_add_nc_u32_e32 v50, 0, v50
	s_waitcnt vmcnt(11)
	ds_store_b128 v50, v[2:5]
	s_waitcnt vmcnt(10)
	ds_store_b128 v50, v[6:9] offset:2720
	s_waitcnt vmcnt(9)
	ds_store_b128 v50, v[10:13] offset:5440
	;; [unrolled: 2-line block ×11, first 2 shown]
	v_cmpx_eq_u32_e32 0xa9, v90
	s_cbranch_execz .LBB0_14
; %bb.13:
	v_add_co_u32 v0, s0, 0x7000, v0
	s_delay_alu instid0(VALU_DEP_1)
	v_add_co_ci_u32_e64 v1, s0, 0, v1, s0
	v_mov_b32_e32 v4, 0
	v_mov_b32_e32 v90, 0xa9
	global_load_b128 v[0:3], v[0:1], off offset:3968
	s_waitcnt vmcnt(0)
	ds_store_b128 v4, v[0:3] offset:32640
.LBB0_14:
	s_or_b32 exec_lo, exec_lo, s4
.LBB0_15:
	s_delay_alu instid0(SALU_CYCLE_1)
	s_or_b32 exec_lo, exec_lo, s1
	v_lshlrev_b32_e32 v0, 4, v90
	s_waitcnt lgkmcnt(0)
	s_barrier
	buffer_gl0_inv
	s_add_u32 s1, s8, 0x7e70
	v_add_nc_u32_e32 v220, 0, v0
	v_sub_nc_u32_e32 v10, 0, v0
	s_addc_u32 s4, s9, 0
	s_mov_b32 s5, exec_lo
                                        ; implicit-def: $vgpr4_vgpr5
	ds_load_b64 v[6:7], v220
	ds_load_b64 v[8:9], v10 offset:32640
	s_waitcnt lgkmcnt(0)
	v_add_f64 v[0:1], v[6:7], v[8:9]
	v_add_f64 v[2:3], v[6:7], -v[8:9]
	v_cmpx_ne_u32_e32 0, v90
	s_xor_b32 s5, exec_lo, s5
	s_cbranch_execz .LBB0_17
; %bb.16:
	v_mov_b32_e32 v91, 0
	v_add_f64 v[13:14], v[6:7], v[8:9]
	v_add_f64 v[15:16], v[6:7], -v[8:9]
	s_delay_alu instid0(VALU_DEP_3) | instskip(NEXT) | instid1(VALU_DEP_1)
	v_lshlrev_b64 v[0:1], 4, v[90:91]
	v_add_co_u32 v0, s0, s1, v0
	s_delay_alu instid0(VALU_DEP_1)
	v_add_co_ci_u32_e64 v1, s0, s4, v1, s0
	global_load_b128 v[2:5], v[0:1], off
	ds_load_b64 v[0:1], v10 offset:32648
	ds_load_b64 v[11:12], v220 offset:8
	s_waitcnt lgkmcnt(0)
	v_add_f64 v[6:7], v[0:1], v[11:12]
	v_add_f64 v[0:1], v[11:12], -v[0:1]
	s_waitcnt vmcnt(0)
	v_fma_f64 v[8:9], v[15:16], v[4:5], v[13:14]
	v_fma_f64 v[11:12], -v[15:16], v[4:5], v[13:14]
	s_delay_alu instid0(VALU_DEP_3) | instskip(SKIP_1) | instid1(VALU_DEP_4)
	v_fma_f64 v[13:14], v[6:7], v[4:5], -v[0:1]
	v_fma_f64 v[4:5], v[6:7], v[4:5], v[0:1]
	v_fma_f64 v[0:1], -v[6:7], v[2:3], v[8:9]
	s_delay_alu instid0(VALU_DEP_4) | instskip(NEXT) | instid1(VALU_DEP_4)
	v_fma_f64 v[6:7], v[6:7], v[2:3], v[11:12]
	v_fma_f64 v[8:9], v[15:16], v[2:3], v[13:14]
	s_delay_alu instid0(VALU_DEP_4)
	v_fma_f64 v[2:3], v[15:16], v[2:3], v[4:5]
	v_dual_mov_b32 v4, v90 :: v_dual_mov_b32 v5, v91
	ds_store_b128 v10, v[6:9] offset:32640
.LBB0_17:
	s_and_not1_saveexec_b32 s0, s5
	s_cbranch_execz .LBB0_19
; %bb.18:
	v_mov_b32_e32 v8, 0
	ds_load_b128 v[4:7], v8 offset:16320
	s_waitcnt lgkmcnt(0)
	v_add_f64 v[11:12], v[4:5], v[4:5]
	v_mul_f64 v[13:14], v[6:7], -2.0
	v_mov_b32_e32 v4, 0
	v_mov_b32_e32 v5, 0
	ds_store_b128 v8, v[11:14] offset:16320
.LBB0_19:
	s_or_b32 exec_lo, exec_lo, s0
	v_lshlrev_b64 v[4:5], 4, v[4:5]
	ds_store_b128 v220, v[0:3]
	s_mov_b32 s10, 0x5d8e7cdc
	s_mov_b32 s24, 0x2a9d6da3
	;; [unrolled: 1-line block ×4, first 2 shown]
	v_add_co_u32 v23, s0, s1, v4
	s_delay_alu instid0(VALU_DEP_1) | instskip(SKIP_1) | instid1(VALU_DEP_2)
	v_add_co_ci_u32_e64 v24, s0, s4, v5, s0
	s_mov_b32 s4, 0x370991
	v_add_co_u32 v8, s0, 0x1000, v23
	global_load_b128 v[4:7], v[23:24], off offset:2720
	v_add_co_ci_u32_e64 v9, s0, 0, v24, s0
	s_mov_b32 s5, 0x3fedd6d0
	s_mov_b32 s12, 0x75d4884
	;; [unrolled: 1-line block ×3, first 2 shown]
	global_load_b128 v[11:14], v[8:9], off offset:1344
	ds_load_b128 v[0:3], v220 offset:2720
	ds_load_b128 v[15:18], v10 offset:29920
	global_load_b128 v[19:22], v[8:9], off offset:4064
	s_mov_b32 s18, 0x7c9e640b
	s_mov_b32 s19, 0xbfeca52d
	;; [unrolled: 1-line block ×18, first 2 shown]
	s_waitcnt lgkmcnt(0)
	v_add_f64 v[8:9], v[0:1], v[15:16]
	v_add_f64 v[25:26], v[17:18], v[2:3]
	v_add_f64 v[15:16], v[0:1], -v[15:16]
	v_add_f64 v[0:1], v[2:3], -v[17:18]
	s_mov_b32 s41, 0xbfe0d888
	s_mov_b32 s40, s36
	;; [unrolled: 1-line block ×22, first 2 shown]
	s_mov_b32 s1, exec_lo
	s_waitcnt vmcnt(2)
	s_delay_alu instid0(VALU_DEP_2) | instskip(NEXT) | instid1(VALU_DEP_2)
	v_fma_f64 v[2:3], v[15:16], v[6:7], v[8:9]
	v_fma_f64 v[17:18], v[25:26], v[6:7], v[0:1]
	v_fma_f64 v[8:9], -v[15:16], v[6:7], v[8:9]
	v_fma_f64 v[27:28], v[25:26], v[6:7], -v[0:1]
	s_delay_alu instid0(VALU_DEP_4) | instskip(NEXT) | instid1(VALU_DEP_4)
	v_fma_f64 v[0:1], -v[25:26], v[4:5], v[2:3]
	v_fma_f64 v[2:3], v[15:16], v[4:5], v[17:18]
	s_delay_alu instid0(VALU_DEP_4) | instskip(NEXT) | instid1(VALU_DEP_4)
	v_fma_f64 v[6:7], v[25:26], v[4:5], v[8:9]
	v_fma_f64 v[8:9], v[15:16], v[4:5], v[27:28]
	ds_store_b128 v220, v[0:3] offset:2720
	ds_store_b128 v10, v[6:9] offset:29920
	ds_load_b128 v[0:3], v220 offset:5440
	ds_load_b128 v[4:7], v10 offset:27200
	v_add_co_u32 v8, s0, 0x2000, v23
	s_delay_alu instid0(VALU_DEP_1)
	v_add_co_ci_u32_e64 v9, s0, 0, v24, s0
	global_load_b128 v[15:18], v[8:9], off offset:2688
	s_waitcnt lgkmcnt(0)
	v_add_f64 v[8:9], v[0:1], v[4:5]
	v_add_f64 v[25:26], v[6:7], v[2:3]
	v_add_f64 v[27:28], v[0:1], -v[4:5]
	v_add_f64 v[0:1], v[2:3], -v[6:7]
	s_waitcnt vmcnt(2)
	s_delay_alu instid0(VALU_DEP_2) | instskip(NEXT) | instid1(VALU_DEP_2)
	v_fma_f64 v[2:3], v[27:28], v[13:14], v[8:9]
	v_fma_f64 v[4:5], v[25:26], v[13:14], v[0:1]
	v_fma_f64 v[6:7], -v[27:28], v[13:14], v[8:9]
	v_fma_f64 v[8:9], v[25:26], v[13:14], -v[0:1]
	s_delay_alu instid0(VALU_DEP_4) | instskip(NEXT) | instid1(VALU_DEP_4)
	v_fma_f64 v[0:1], -v[25:26], v[11:12], v[2:3]
	v_fma_f64 v[2:3], v[27:28], v[11:12], v[4:5]
	s_delay_alu instid0(VALU_DEP_4) | instskip(NEXT) | instid1(VALU_DEP_4)
	v_fma_f64 v[4:5], v[25:26], v[11:12], v[6:7]
	v_fma_f64 v[6:7], v[27:28], v[11:12], v[8:9]
	v_add_co_u32 v8, s0, 0x3000, v23
	s_delay_alu instid0(VALU_DEP_1)
	v_add_co_ci_u32_e64 v9, s0, 0, v24, s0
	ds_store_b128 v220, v[0:3] offset:5440
	ds_store_b128 v10, v[4:7] offset:27200
	ds_load_b128 v[0:3], v220 offset:8160
	ds_load_b128 v[4:7], v10 offset:24480
	global_load_b128 v[11:14], v[8:9], off offset:1312
	s_waitcnt lgkmcnt(0)
	v_add_f64 v[8:9], v[0:1], v[4:5]
	v_add_f64 v[23:24], v[6:7], v[2:3]
	v_add_f64 v[25:26], v[0:1], -v[4:5]
	v_add_f64 v[0:1], v[2:3], -v[6:7]
	s_waitcnt vmcnt(2)
	s_delay_alu instid0(VALU_DEP_2) | instskip(NEXT) | instid1(VALU_DEP_2)
	v_fma_f64 v[2:3], v[25:26], v[21:22], v[8:9]
	v_fma_f64 v[4:5], v[23:24], v[21:22], v[0:1]
	v_fma_f64 v[6:7], -v[25:26], v[21:22], v[8:9]
	v_fma_f64 v[8:9], v[23:24], v[21:22], -v[0:1]
	s_delay_alu instid0(VALU_DEP_4) | instskip(NEXT) | instid1(VALU_DEP_4)
	v_fma_f64 v[0:1], -v[23:24], v[19:20], v[2:3]
	v_fma_f64 v[2:3], v[25:26], v[19:20], v[4:5]
	s_delay_alu instid0(VALU_DEP_4) | instskip(NEXT) | instid1(VALU_DEP_4)
	v_fma_f64 v[4:5], v[23:24], v[19:20], v[6:7]
	v_fma_f64 v[6:7], v[25:26], v[19:20], v[8:9]
	ds_store_b128 v220, v[0:3] offset:8160
	ds_store_b128 v10, v[4:7] offset:24480
	ds_load_b128 v[0:3], v220 offset:10880
	ds_load_b128 v[4:7], v10 offset:21760
	s_waitcnt lgkmcnt(0)
	v_add_f64 v[8:9], v[0:1], v[4:5]
	v_add_f64 v[19:20], v[6:7], v[2:3]
	v_add_f64 v[21:22], v[0:1], -v[4:5]
	v_add_f64 v[0:1], v[2:3], -v[6:7]
	s_waitcnt vmcnt(1)
	s_delay_alu instid0(VALU_DEP_2) | instskip(NEXT) | instid1(VALU_DEP_2)
	v_fma_f64 v[2:3], v[21:22], v[17:18], v[8:9]
	v_fma_f64 v[4:5], v[19:20], v[17:18], v[0:1]
	v_fma_f64 v[6:7], -v[21:22], v[17:18], v[8:9]
	v_fma_f64 v[8:9], v[19:20], v[17:18], -v[0:1]
	s_delay_alu instid0(VALU_DEP_4) | instskip(NEXT) | instid1(VALU_DEP_4)
	v_fma_f64 v[0:1], -v[19:20], v[15:16], v[2:3]
	v_fma_f64 v[2:3], v[21:22], v[15:16], v[4:5]
	s_delay_alu instid0(VALU_DEP_4) | instskip(NEXT) | instid1(VALU_DEP_4)
	v_fma_f64 v[4:5], v[19:20], v[15:16], v[6:7]
	v_fma_f64 v[6:7], v[21:22], v[15:16], v[8:9]
	ds_store_b128 v220, v[0:3] offset:10880
	ds_store_b128 v10, v[4:7] offset:21760
	ds_load_b128 v[0:3], v220 offset:13600
	ds_load_b128 v[4:7], v10 offset:19040
	s_waitcnt lgkmcnt(0)
	v_add_f64 v[8:9], v[0:1], v[4:5]
	v_add_f64 v[15:16], v[6:7], v[2:3]
	v_add_f64 v[17:18], v[0:1], -v[4:5]
	v_add_f64 v[0:1], v[2:3], -v[6:7]
	s_waitcnt vmcnt(0)
	s_delay_alu instid0(VALU_DEP_2) | instskip(NEXT) | instid1(VALU_DEP_2)
	v_fma_f64 v[2:3], v[17:18], v[13:14], v[8:9]
	v_fma_f64 v[4:5], v[15:16], v[13:14], v[0:1]
	v_fma_f64 v[6:7], -v[17:18], v[13:14], v[8:9]
	v_fma_f64 v[8:9], v[15:16], v[13:14], -v[0:1]
	s_delay_alu instid0(VALU_DEP_4) | instskip(NEXT) | instid1(VALU_DEP_4)
	v_fma_f64 v[0:1], -v[15:16], v[11:12], v[2:3]
	v_fma_f64 v[2:3], v[17:18], v[11:12], v[4:5]
	s_delay_alu instid0(VALU_DEP_4) | instskip(NEXT) | instid1(VALU_DEP_4)
	v_fma_f64 v[4:5], v[15:16], v[11:12], v[6:7]
	v_fma_f64 v[6:7], v[17:18], v[11:12], v[8:9]
	ds_store_b128 v220, v[0:3] offset:13600
	ds_store_b128 v10, v[4:7] offset:19040
	s_waitcnt lgkmcnt(0)
	s_barrier
	buffer_gl0_inv
	s_barrier
	buffer_gl0_inv
	ds_load_b128 v[20:23], v220 offset:30720
	ds_load_b128 v[36:39], v220 offset:1920
	ds_load_b128 v[24:27], v220
	ds_load_b128 v[28:31], v220 offset:28800
	ds_load_b128 v[40:43], v220 offset:3840
	;; [unrolled: 1-line block ×4, first 2 shown]
	s_waitcnt lgkmcnt(5)
	v_add_f64 v[182:183], v[38:39], -v[22:23]
	v_add_f64 v[178:179], v[36:37], v[20:21]
	s_waitcnt lgkmcnt(2)
	v_add_f64 v[128:129], v[42:43], -v[30:31]
	v_add_f64 v[114:115], v[40:41], -v[28:29]
	v_add_f64 v[94:95], v[40:41], v[28:29]
	v_add_f64 v[188:189], v[36:37], -v[20:21]
	v_add_f64 v[184:185], v[38:39], v[22:23]
	v_add_f64 v[98:99], v[42:43], v[30:31]
	s_waitcnt lgkmcnt(0)
	v_add_f64 v[134:135], v[50:51], -v[34:35]
	v_add_f64 v[102:103], v[48:49], v[32:33]
	v_add_f64 v[116:117], v[48:49], -v[32:33]
	v_add_f64 v[106:107], v[50:51], v[34:35]
	v_mul_f64 v[0:1], v[182:183], s[10:11]
	v_mul_f64 v[204:205], v[182:183], s[24:25]
	;; [unrolled: 1-line block ×22, first 2 shown]
	s_clause 0x2
	scratch_store_b64 off, v[2:3], off
	scratch_store_b64 off, v[4:5], off offset:8
	scratch_store_b64 off, v[0:1], off offset:112
	v_fma_f64 v[0:1], v[178:179], s[4:5], v[0:1]
	v_fma_f64 v[2:3], v[94:95], s[12:13], v[2:3]
	v_fma_f64 v[4:5], v[98:99], s[12:13], -v[4:5]
	v_fma_f64 v[16:17], v[98:99], s[34:35], -v[234:235]
	;; [unrolled: 1-line block ×3, first 2 shown]
	v_add_f64 v[0:1], v[24:25], v[0:1]
	s_delay_alu instid0(VALU_DEP_1) | instskip(SKIP_3) | instid1(VALU_DEP_1)
	v_add_f64 v[0:1], v[2:3], v[0:1]
	v_mul_f64 v[2:3], v[188:189], s[10:11]
	scratch_store_b64 off, v[2:3], off offset:120 ; 8-byte Folded Spill
	v_fma_f64 v[2:3], v[184:185], s[4:5], -v[2:3]
	v_add_f64 v[2:3], v[26:27], v[2:3]
	s_delay_alu instid0(VALU_DEP_1) | instskip(SKIP_3) | instid1(VALU_DEP_1)
	v_add_f64 v[2:3], v[4:5], v[2:3]
	v_mul_f64 v[4:5], v[134:135], s[18:19]
	scratch_store_b64 off, v[4:5], off offset:16 ; 8-byte Folded Spill
	v_fma_f64 v[4:5], v[102:103], s[14:15], v[4:5]
	v_add_f64 v[0:1], v[4:5], v[0:1]
	v_mul_f64 v[4:5], v[116:117], s[18:19]
	scratch_store_b64 off, v[4:5], off offset:24 ; 8-byte Folded Spill
	ds_load_b128 v[44:47], v220 offset:24960
	ds_load_b128 v[56:59], v220 offset:7680
	;; [unrolled: 1-line block ×4, first 2 shown]
	v_fma_f64 v[4:5], v[106:107], s[14:15], -v[4:5]
	s_waitcnt lgkmcnt(2)
	v_add_f64 v[138:139], v[58:59], -v[46:47]
	v_add_f64 v[110:111], v[56:57], v[44:45]
	v_add_f64 v[126:127], v[56:57], -v[44:45]
	v_add_f64 v[118:119], v[58:59], v[46:47]
	s_waitcnt lgkmcnt(0)
	v_add_f64 v[144:145], v[62:63], -v[54:55]
	v_add_f64 v[122:123], v[60:61], v[52:53]
	v_add_f64 v[136:137], v[60:61], -v[52:53]
	v_add_f64 v[130:131], v[62:63], v[54:55]
	v_add_f64 v[2:3], v[4:5], v[2:3]
	v_mul_f64 v[4:5], v[138:139], s[22:23]
	v_mul_f64 v[226:227], v[138:139], s[42:43]
	;; [unrolled: 1-line block ×13, first 2 shown]
	scratch_store_b64 off, v[4:5], off offset:32 ; 8-byte Folded Spill
	v_fma_f64 v[4:5], v[110:111], s[16:17], v[4:5]
	s_delay_alu instid0(VALU_DEP_1) | instskip(SKIP_3) | instid1(VALU_DEP_1)
	v_add_f64 v[0:1], v[4:5], v[0:1]
	v_mul_f64 v[4:5], v[126:127], s[22:23]
	scratch_store_b64 off, v[4:5], off offset:40 ; 8-byte Folded Spill
	v_fma_f64 v[4:5], v[118:119], s[16:17], -v[4:5]
	v_add_f64 v[2:3], v[4:5], v[2:3]
	v_mul_f64 v[4:5], v[144:145], s[26:27]
	scratch_store_b64 off, v[4:5], off offset:48 ; 8-byte Folded Spill
	v_fma_f64 v[4:5], v[122:123], s[20:21], v[4:5]
	s_delay_alu instid0(VALU_DEP_1)
	v_add_f64 v[0:1], v[4:5], v[0:1]
	v_mul_f64 v[4:5], v[136:137], s[26:27]
	scratch_store_b64 off, v[4:5], off offset:56 ; 8-byte Folded Spill
	ds_load_b128 v[64:67], v220 offset:21120
	ds_load_b128 v[68:71], v220 offset:11520
	;; [unrolled: 1-line block ×4, first 2 shown]
	v_fma_f64 v[4:5], v[130:131], s[20:21], -v[4:5]
	s_waitcnt lgkmcnt(2)
	v_add_f64 v[170:171], v[70:71], -v[66:67]
	v_add_f64 v[140:141], v[68:69], v[64:65]
	v_add_f64 v[158:159], v[68:69], -v[64:65]
	v_add_f64 v[146:147], v[70:71], v[66:67]
	s_waitcnt lgkmcnt(0)
	v_add_f64 v[172:173], v[78:79], -v[74:75]
	v_add_f64 v[150:151], v[76:77], v[72:73]
	v_add_f64 v[168:169], v[76:77], -v[72:73]
	v_add_f64 v[154:155], v[78:79], v[74:75]
	v_add_f64 v[2:3], v[4:5], v[2:3]
	v_mul_f64 v[4:5], v[170:171], s[52:53]
	v_mul_f64 v[228:229], v[170:171], s[50:51]
	;; [unrolled: 1-line block ×15, first 2 shown]
	scratch_store_b64 off, v[4:5], off offset:64 ; 8-byte Folded Spill
	v_fma_f64 v[4:5], v[140:141], s[28:29], v[4:5]
	s_delay_alu instid0(VALU_DEP_1) | instskip(SKIP_3) | instid1(VALU_DEP_1)
	v_add_f64 v[0:1], v[4:5], v[0:1]
	v_mul_f64 v[4:5], v[158:159], s[52:53]
	scratch_store_b64 off, v[4:5], off offset:72 ; 8-byte Folded Spill
	v_fma_f64 v[4:5], v[146:147], s[28:29], -v[4:5]
	v_add_f64 v[2:3], v[4:5], v[2:3]
	v_mul_f64 v[4:5], v[172:173], s[40:41]
	scratch_store_b64 off, v[4:5], off offset:80 ; 8-byte Folded Spill
	v_fma_f64 v[4:5], v[150:151], s[30:31], v[4:5]
	s_delay_alu instid0(VALU_DEP_1)
	v_add_f64 v[0:1], v[4:5], v[0:1]
	v_mul_f64 v[4:5], v[168:169], s[40:41]
	scratch_store_b64 off, v[4:5], off offset:88 ; 8-byte Folded Spill
	ds_load_b128 v[84:87], v220 offset:15360
	ds_load_b128 v[80:83], v220 offset:17280
	v_fma_f64 v[4:5], v[154:155], s[30:31], -v[4:5]
	s_clause 0x1
	scratch_store_b64 off, v[6:7], off offset:128
	scratch_store_b64 off, v[14:15], off offset:208
	v_fma_f64 v[6:7], v[94:95], s[16:17], v[6:7]
	scratch_store_b64 off, v[8:9], off offset:152 ; 8-byte Folded Spill
	v_fma_f64 v[8:9], v[98:99], s[16:17], -v[8:9]
	scratch_store_b64 off, v[12:13], off offset:224 ; 8-byte Folded Spill
	v_fma_f64 v[12:13], v[98:99], s[28:29], -v[12:13]
	v_fma_f64 v[14:15], v[94:95], s[34:35], v[14:15]
	s_waitcnt lgkmcnt(0)
	v_add_f64 v[176:177], v[86:87], -v[82:83]
	v_add_f64 v[160:161], v[84:85], v[80:81]
	v_add_f64 v[174:175], v[84:85], -v[80:81]
	v_add_f64 v[164:165], v[86:87], v[82:83]
	v_add_f64 v[2:3], v[4:5], v[2:3]
	v_mul_f64 v[4:5], v[176:177], s[38:39]
	v_mul_f64 v[230:231], v[176:177], s[40:41]
	;; [unrolled: 1-line block ×5, first 2 shown]
	scratch_store_b64 off, v[4:5], off offset:96 ; 8-byte Folded Spill
	v_fma_f64 v[4:5], v[160:161], s[34:35], v[4:5]
	s_delay_alu instid0(VALU_DEP_1) | instskip(SKIP_3) | instid1(VALU_DEP_1)
	v_add_f64 v[0:1], v[4:5], v[0:1]
	v_mul_f64 v[4:5], v[174:175], s[38:39]
	scratch_store_b64 off, v[4:5], off offset:104 ; 8-byte Folded Spill
	v_fma_f64 v[4:5], v[164:165], s[34:35], -v[4:5]
	v_add_f64 v[2:3], v[4:5], v[2:3]
	v_fma_f64 v[4:5], v[178:179], s[12:13], v[204:205]
	s_delay_alu instid0(VALU_DEP_1) | instskip(NEXT) | instid1(VALU_DEP_1)
	v_add_f64 v[4:5], v[24:25], v[4:5]
	v_add_f64 v[4:5], v[6:7], v[4:5]
	v_fma_f64 v[6:7], v[184:185], s[12:13], -v[206:207]
	s_delay_alu instid0(VALU_DEP_1) | instskip(NEXT) | instid1(VALU_DEP_1)
	v_add_f64 v[6:7], v[26:27], v[6:7]
	v_add_f64 v[6:7], v[8:9], v[6:7]
	v_mul_f64 v[8:9], v[134:135], s[52:53]
	scratch_store_b64 off, v[8:9], off offset:136 ; 8-byte Folded Spill
	v_fma_f64 v[8:9], v[102:103], s[28:29], v[8:9]
	s_delay_alu instid0(VALU_DEP_1) | instskip(SKIP_3) | instid1(VALU_DEP_1)
	v_add_f64 v[4:5], v[8:9], v[4:5]
	v_mul_f64 v[8:9], v[116:117], s[52:53]
	scratch_store_b64 off, v[8:9], off offset:168 ; 8-byte Folded Spill
	v_fma_f64 v[8:9], v[106:107], s[28:29], -v[8:9]
	v_add_f64 v[6:7], v[8:9], v[6:7]
	v_mul_f64 v[8:9], v[138:139], s[38:39]
	scratch_store_b64 off, v[8:9], off offset:144 ; 8-byte Folded Spill
	v_fma_f64 v[8:9], v[110:111], s[34:35], v[8:9]
	s_delay_alu instid0(VALU_DEP_1) | instskip(SKIP_3) | instid1(VALU_DEP_1)
	v_add_f64 v[4:5], v[8:9], v[4:5]
	v_mul_f64 v[8:9], v[126:127], s[38:39]
	scratch_store_b64 off, v[8:9], off offset:232 ; 8-byte Folded Spill
	v_fma_f64 v[8:9], v[118:119], s[34:35], -v[8:9]
	v_add_f64 v[6:7], v[8:9], v[6:7]
	v_mul_f64 v[8:9], v[144:145], s[36:37]
	scratch_store_b64 off, v[8:9], off offset:184 ; 8-byte Folded Spill
	v_fma_f64 v[8:9], v[122:123], s[30:31], v[8:9]
	s_delay_alu instid0(VALU_DEP_1) | instskip(SKIP_1) | instid1(VALU_DEP_1)
	v_add_f64 v[4:5], v[8:9], v[4:5]
	v_fma_f64 v[8:9], v[130:131], s[30:31], -v[236:237]
	v_add_f64 v[6:7], v[8:9], v[6:7]
	v_fma_f64 v[8:9], v[140:141], s[20:21], v[228:229]
	s_delay_alu instid0(VALU_DEP_1) | instskip(SKIP_1) | instid1(VALU_DEP_1)
	v_add_f64 v[4:5], v[8:9], v[4:5]
	v_fma_f64 v[8:9], v[146:147], s[20:21], -v[104:105]
	v_add_f64 v[6:7], v[8:9], v[6:7]
	v_mul_f64 v[8:9], v[172:173], s[46:47]
	scratch_store_b64 off, v[8:9], off offset:192 ; 8-byte Folded Spill
	v_fma_f64 v[8:9], v[150:151], s[14:15], v[8:9]
	s_delay_alu instid0(VALU_DEP_1) | instskip(SKIP_3) | instid1(VALU_DEP_1)
	v_add_f64 v[4:5], v[8:9], v[4:5]
	v_mul_f64 v[8:9], v[168:169], s[46:47]
	scratch_store_b64 off, v[8:9], off offset:240 ; 8-byte Folded Spill
	v_fma_f64 v[8:9], v[154:155], s[14:15], -v[8:9]
	v_add_f64 v[6:7], v[8:9], v[6:7]
	v_mul_f64 v[8:9], v[176:177], s[42:43]
	scratch_store_b64 off, v[8:9], off offset:200 ; 8-byte Folded Spill
	v_fma_f64 v[8:9], v[160:161], s[4:5], v[8:9]
	s_delay_alu instid0(VALU_DEP_1) | instskip(SKIP_3) | instid1(VALU_DEP_1)
	v_add_f64 v[8:9], v[8:9], v[4:5]
	v_mul_f64 v[4:5], v[174:175], s[42:43]
	scratch_store_b64 off, v[4:5], off offset:256 ; 8-byte Folded Spill
	v_fma_f64 v[4:5], v[164:165], s[4:5], -v[4:5]
	v_add_f64 v[10:11], v[4:5], v[6:7]
	v_fma_f64 v[4:5], v[178:179], s[14:15], v[208:209]
	v_mul_f64 v[6:7], v[128:129], s[52:53]
	s_delay_alu instid0(VALU_DEP_2) | instskip(SKIP_2) | instid1(VALU_DEP_1)
	v_add_f64 v[4:5], v[24:25], v[4:5]
	scratch_store_b64 off, v[6:7], off offset:160 ; 8-byte Folded Spill
	v_fma_f64 v[6:7], v[94:95], s[28:29], v[6:7]
	v_add_f64 v[4:5], v[6:7], v[4:5]
	v_fma_f64 v[6:7], v[184:185], s[14:15], -v[210:211]
	s_delay_alu instid0(VALU_DEP_1) | instskip(NEXT) | instid1(VALU_DEP_1)
	v_add_f64 v[6:7], v[26:27], v[6:7]
	v_add_f64 v[6:7], v[12:13], v[6:7]
	v_mul_f64 v[12:13], v[134:135], s[44:45]
	scratch_store_b64 off, v[12:13], off offset:176 ; 8-byte Folded Spill
	v_fma_f64 v[12:13], v[102:103], s[34:35], v[12:13]
	s_delay_alu instid0(VALU_DEP_1) | instskip(SKIP_1) | instid1(VALU_DEP_1)
	v_add_f64 v[4:5], v[12:13], v[4:5]
	v_fma_f64 v[12:13], v[106:107], s[34:35], -v[232:233]
	v_add_f64 v[6:7], v[12:13], v[6:7]
	v_mul_f64 v[12:13], v[138:139], s[50:51]
	scratch_store_b64 off, v[12:13], off offset:216 ; 8-byte Folded Spill
	v_fma_f64 v[12:13], v[110:111], s[20:21], v[12:13]
	s_delay_alu instid0(VALU_DEP_1) | instskip(SKIP_1) | instid1(VALU_DEP_1)
	v_add_f64 v[4:5], v[12:13], v[4:5]
	v_fma_f64 v[12:13], v[118:119], s[20:21], -v[248:249]
	v_add_f64 v[6:7], v[12:13], v[6:7]
	v_fma_f64 v[12:13], v[122:123], s[12:13], v[242:243]
	s_delay_alu instid0(VALU_DEP_1) | instskip(SKIP_1) | instid1(VALU_DEP_1)
	v_add_f64 v[4:5], v[12:13], v[4:5]
	v_fma_f64 v[12:13], v[130:131], s[12:13], -v[152:153]
	v_add_f64 v[6:7], v[12:13], v[6:7]
	v_fma_f64 v[12:13], v[140:141], s[4:5], v[112:113]
	s_delay_alu instid0(VALU_DEP_1) | instskip(SKIP_1) | instid1(VALU_DEP_1)
	v_add_f64 v[4:5], v[12:13], v[4:5]
	v_fma_f64 v[12:13], v[146:147], s[4:5], -v[192:193]
	v_add_f64 v[6:7], v[12:13], v[6:7]
	v_fma_f64 v[12:13], v[150:151], s[16:17], v[238:239]
	s_delay_alu instid0(VALU_DEP_1) | instskip(SKIP_1) | instid1(VALU_DEP_1)
	v_add_f64 v[4:5], v[12:13], v[4:5]
	v_fma_f64 v[12:13], v[154:155], s[16:17], -v[250:251]
	v_add_f64 v[6:7], v[12:13], v[6:7]
	v_fma_f64 v[12:13], v[160:161], s[30:31], v[230:231]
	s_delay_alu instid0(VALU_DEP_1) | instskip(SKIP_1) | instid1(VALU_DEP_1)
	v_add_f64 v[4:5], v[12:13], v[4:5]
	v_fma_f64 v[12:13], v[164:165], s[30:31], -v[246:247]
	v_add_f64 v[6:7], v[12:13], v[6:7]
	v_fma_f64 v[12:13], v[178:179], s[16:17], v[212:213]
	s_delay_alu instid0(VALU_DEP_1) | instskip(NEXT) | instid1(VALU_DEP_1)
	v_add_f64 v[12:13], v[24:25], v[12:13]
	v_add_f64 v[12:13], v[14:15], v[12:13]
	v_fma_f64 v[14:15], v[184:185], s[16:17], -v[214:215]
	s_delay_alu instid0(VALU_DEP_1) | instskip(NEXT) | instid1(VALU_DEP_1)
	v_add_f64 v[14:15], v[26:27], v[14:15]
	v_add_f64 v[14:15], v[16:17], v[14:15]
	v_mul_f64 v[16:17], v[134:135], s[50:51]
	scratch_store_b64 off, v[16:17], off offset:248 ; 8-byte Folded Spill
	v_fma_f64 v[16:17], v[102:103], s[20:21], v[16:17]
	s_waitcnt_vscnt null, 0x0
	s_barrier
	buffer_gl0_inv
	v_add_f64 v[12:13], v[16:17], v[12:13]
	v_fma_f64 v[16:17], v[106:107], s[20:21], -v[254:255]
	s_delay_alu instid0(VALU_DEP_1) | instskip(SKIP_1) | instid1(VALU_DEP_1)
	v_add_f64 v[14:15], v[16:17], v[14:15]
	v_fma_f64 v[16:17], v[110:111], s[4:5], v[226:227]
	v_add_f64 v[12:13], v[16:17], v[12:13]
	v_fma_f64 v[16:17], v[118:119], s[4:5], -v[124:125]
	s_delay_alu instid0(VALU_DEP_1) | instskip(SKIP_1) | instid1(VALU_DEP_1)
	v_add_f64 v[14:15], v[16:17], v[14:15]
	v_fma_f64 v[16:17], v[122:123], s[14:15], v[108:109]
	;; [unrolled: 5-line block ×5, first 2 shown]
	v_add_f64 v[16:17], v[16:17], v[12:13]
	v_fma_f64 v[12:13], v[164:165], s[12:13], -v[120:121]
	s_delay_alu instid0(VALU_DEP_1) | instskip(SKIP_2) | instid1(VALU_DEP_2)
	v_add_f64 v[18:19], v[12:13], v[14:15]
	v_fma_f64 v[12:13], v[178:179], s[20:21], v[216:217]
	v_fma_f64 v[14:15], v[94:95], s[30:31], v[224:225]
	v_add_f64 v[12:13], v[24:25], v[12:13]
	s_delay_alu instid0(VALU_DEP_1) | instskip(SKIP_1) | instid1(VALU_DEP_1)
	v_add_f64 v[12:13], v[14:15], v[12:13]
	v_fma_f64 v[14:15], v[184:185], s[20:21], -v[218:219]
	v_add_f64 v[14:15], v[26:27], v[14:15]
	s_delay_alu instid0(VALU_DEP_1) | instskip(SKIP_1) | instid1(VALU_DEP_1)
	v_add_f64 v[14:15], v[142:143], v[14:15]
	v_fma_f64 v[142:143], v[102:103], s[12:13], v[240:241]
	v_add_f64 v[12:13], v[142:143], v[12:13]
	v_fma_f64 v[142:143], v[106:107], s[12:13], -v[148:149]
	s_delay_alu instid0(VALU_DEP_1) | instskip(SKIP_1) | instid1(VALU_DEP_1)
	v_add_f64 v[14:15], v[142:143], v[14:15]
	v_fma_f64 v[142:143], v[110:111], s[14:15], v[244:245]
	v_add_f64 v[12:13], v[142:143], v[12:13]
	v_fma_f64 v[142:143], v[118:119], s[14:15], -v[190:191]
	;; [unrolled: 5-line block ×5, first 2 shown]
	s_delay_alu instid0(VALU_DEP_1) | instskip(SKIP_1) | instid1(VALU_DEP_1)
	v_add_f64 v[14:15], v[142:143], v[14:15]
	v_mul_f64 v[142:143], v[176:177], s[52:53]
	v_fma_f64 v[186:187], v[160:161], s[28:29], v[142:143]
	s_delay_alu instid0(VALU_DEP_1) | instskip(SKIP_1) | instid1(VALU_DEP_1)
	v_add_f64 v[12:13], v[186:187], v[12:13]
	v_mul_f64 v[186:187], v[174:175], s[52:53]
	v_fma_f64 v[221:222], v[164:165], s[28:29], -v[186:187]
	s_delay_alu instid0(VALU_DEP_1)
	v_add_f64 v[14:15], v[221:222], v[14:15]
	v_cmpx_gt_u32_e32 0x78, v90
	s_cbranch_execz .LBB0_21
; %bb.20:
	v_add_f64 v[36:37], v[24:25], v[36:37]
	v_add_f64 v[38:39], v[26:27], v[38:39]
	scratch_load_b64 v[221:222], off, off offset:136 ; 8-byte Folded Reload
	v_add_f64 v[36:37], v[36:37], v[40:41]
	v_add_f64 v[38:39], v[38:39], v[42:43]
	v_mul_f64 v[40:41], v[184:185], s[20:21]
	v_mul_f64 v[42:43], v[178:179], s[20:21]
	s_delay_alu instid0(VALU_DEP_4) | instskip(NEXT) | instid1(VALU_DEP_4)
	v_add_f64 v[36:37], v[36:37], v[48:49]
	v_add_f64 v[38:39], v[38:39], v[50:51]
	s_delay_alu instid0(VALU_DEP_4)
	v_add_f64 v[40:41], v[218:219], v[40:41]
	scratch_load_b64 v[218:219], off, off offset:128 ; 8-byte Folded Reload
	v_mul_f64 v[48:49], v[184:185], s[14:15]
	v_mul_f64 v[50:51], v[178:179], s[14:15]
	v_add_f64 v[42:43], v[42:43], -v[216:217]
	scratch_load_b64 v[216:217], off, off offset:184 ; 8-byte Folded Reload
	v_add_f64 v[36:37], v[36:37], v[56:57]
	v_add_f64 v[38:39], v[38:39], v[58:59]
	scratch_load_b64 v[58:59], off, off offset:120 ; 8-byte Folded Reload
	v_mul_f64 v[56:57], v[184:185], s[4:5]
	v_add_f64 v[48:49], v[210:211], v[48:49]
	v_add_f64 v[50:51], v[50:51], -v[208:209]
	v_mul_f64 v[208:209], v[164:165], s[20:21]
	v_mul_f64 v[210:211], v[176:177], s[26:27]
	v_add_f64 v[36:37], v[36:37], v[60:61]
	v_add_f64 v[38:39], v[38:39], v[62:63]
	v_mul_f64 v[60:61], v[182:183], s[40:41]
	v_mul_f64 v[62:63], v[182:183], s[52:53]
	s_delay_alu instid0(VALU_DEP_4) | instskip(NEXT) | instid1(VALU_DEP_4)
	v_add_f64 v[36:37], v[36:37], v[68:69]
	v_add_f64 v[38:39], v[38:39], v[70:71]
	v_mul_f64 v[70:71], v[178:179], s[4:5]
	s_delay_alu instid0(VALU_DEP_4)
	v_fma_f64 v[68:69], v[178:179], s[28:29], v[62:63]
	v_fma_f64 v[62:63], v[178:179], s[28:29], -v[62:63]
	v_add_f64 v[36:37], v[36:37], v[76:77]
	v_add_f64 v[38:39], v[38:39], v[78:79]
	;; [unrolled: 1-line block ×6, first 2 shown]
	v_mul_f64 v[48:49], v[106:107], s[30:31]
	v_add_f64 v[36:37], v[36:37], v[84:85]
	v_add_f64 v[38:39], v[38:39], v[86:87]
	s_delay_alu instid0(VALU_DEP_2) | instskip(NEXT) | instid1(VALU_DEP_2)
	v_add_f64 v[36:37], v[36:37], v[80:81]
	v_add_f64 v[38:39], v[38:39], v[82:83]
	;; [unrolled: 1-line block ×4, first 2 shown]
	v_fma_f64 v[50:51], v[116:117], s[36:37], v[48:49]
	v_add_f64 v[36:37], v[36:37], v[72:73]
	scratch_load_b64 v[72:73], off, off offset:112 ; 8-byte Folded Reload
	v_add_f64 v[38:39], v[38:39], v[74:75]
	v_add_f64 v[36:37], v[36:37], v[64:65]
	s_delay_alu instid0(VALU_DEP_2) | instskip(SKIP_2) | instid1(VALU_DEP_4)
	v_add_f64 v[38:39], v[38:39], v[66:67]
	v_fma_f64 v[66:67], v[178:179], s[30:31], v[60:61]
	v_fma_f64 v[60:61], v[178:179], s[30:31], -v[60:61]
	v_add_f64 v[36:37], v[36:37], v[52:53]
	v_mul_f64 v[52:53], v[184:185], s[12:13]
	v_add_f64 v[38:39], v[38:39], v[54:55]
	v_mul_f64 v[54:55], v[178:179], s[12:13]
	v_add_f64 v[66:67], v[24:25], v[66:67]
	v_add_f64 v[60:61], v[24:25], v[60:61]
	s_waitcnt vmcnt(1)
	v_add_f64 v[56:57], v[58:59], v[56:57]
	v_mul_f64 v[58:59], v[182:183], s[38:39]
	v_add_f64 v[36:37], v[36:37], v[44:45]
	v_mul_f64 v[44:45], v[184:185], s[16:17]
	;; [unrolled: 2-line block ×3, first 2 shown]
	v_add_f64 v[54:55], v[54:55], -v[204:205]
	v_add_f64 v[52:53], v[206:207], v[52:53]
	v_mul_f64 v[204:205], v[176:177], s[56:57]
	v_mul_f64 v[206:207], v[172:173], s[48:49]
	v_add_f64 v[82:83], v[26:27], v[56:57]
	v_fma_f64 v[64:65], v[178:179], s[34:35], v[58:59]
	v_fma_f64 v[58:59], v[178:179], s[34:35], -v[58:59]
	v_add_f64 v[32:33], v[36:37], v[32:33]
	v_mul_f64 v[36:37], v[184:185], s[28:29]
	v_add_f64 v[34:35], v[38:39], v[34:35]
	v_add_f64 v[46:47], v[46:47], -v[212:213]
	v_add_f64 v[44:45], v[214:215], v[44:45]
	v_mul_f64 v[214:215], v[122:123], s[30:31]
	scratch_load_b64 v[212:213], off, off offset:152 ; 8-byte Folded Reload
	v_add_f64 v[64:65], v[24:25], v[64:65]
	v_add_f64 v[58:59], v[24:25], v[58:59]
	;; [unrolled: 1-line block ×3, first 2 shown]
	v_mul_f64 v[32:33], v[184:185], s[30:31]
	v_add_f64 v[30:31], v[34:35], v[30:31]
	v_fma_f64 v[38:39], v[188:189], s[54:55], v[36:37]
	v_add_f64 v[46:47], v[24:25], v[46:47]
	v_fma_f64 v[36:37], v[188:189], s[52:53], v[36:37]
	v_add_f64 v[44:45], v[26:27], v[44:45]
	v_add_f64 v[214:215], v[214:215], -v[216:217]
	v_mul_f64 v[216:217], v[94:95], s[16:17]
	v_add_f64 v[20:21], v[28:29], v[20:21]
	v_mul_f64 v[28:29], v[184:185], s[34:35]
	v_fma_f64 v[34:35], v[188:189], s[36:37], v[32:33]
	v_fma_f64 v[32:33], v[188:189], s[40:41], v[32:33]
	v_add_f64 v[22:23], v[30:31], v[22:23]
	v_add_f64 v[74:75], v[26:27], v[38:39]
	;; [unrolled: 1-line block ×5, first 2 shown]
	v_add_f64 v[216:217], v[216:217], -v[218:219]
	v_mul_f64 v[218:219], v[102:103], s[28:29]
	v_fma_f64 v[30:31], v[188:189], s[44:45], v[28:29]
	v_fma_f64 v[28:29], v[188:189], s[38:39], v[28:29]
	v_add_f64 v[34:35], v[26:27], v[34:35]
	v_mul_f64 v[188:189], v[164:165], s[16:17]
	v_add_f64 v[38:39], v[216:217], v[38:39]
	scratch_load_b64 v[216:217], off, off offset:144 ; 8-byte Folded Reload
	v_add_f64 v[218:219], v[218:219], -v[221:222]
	v_add_f64 v[30:31], v[26:27], v[30:31]
	v_add_f64 v[28:29], v[26:27], v[28:29]
	s_delay_alu instid0(VALU_DEP_3) | instskip(SKIP_4) | instid1(VALU_DEP_3)
	v_add_f64 v[38:39], v[218:219], v[38:39]
	s_waitcnt vmcnt(2)
	v_add_f64 v[70:71], v[70:71], -v[72:73]
	v_add_f64 v[72:73], v[26:27], v[32:33]
	v_mul_f64 v[32:33], v[98:99], s[4:5]
	v_add_f64 v[70:71], v[24:25], v[70:71]
	s_delay_alu instid0(VALU_DEP_2) | instskip(SKIP_1) | instid1(VALU_DEP_2)
	v_fma_f64 v[24:25], v[114:115], s[10:11], v[32:33]
	v_fma_f64 v[32:33], v[114:115], s[42:43], v[32:33]
	v_add_f64 v[24:25], v[24:25], v[30:31]
	v_mul_f64 v[30:31], v[128:129], s[42:43]
	s_delay_alu instid0(VALU_DEP_3)
	v_add_f64 v[28:29], v[32:33], v[28:29]
	v_fma_f64 v[32:33], v[116:117], s[40:41], v[48:49]
	v_fma_f64 v[48:49], v[160:161], s[16:17], -v[204:205]
	v_add_f64 v[24:25], v[50:51], v[24:25]
	v_fma_f64 v[26:27], v[94:95], s[4:5], v[30:31]
	v_mul_f64 v[50:51], v[134:135], s[40:41]
	v_fma_f64 v[30:31], v[94:95], s[4:5], -v[30:31]
	v_add_f64 v[28:29], v[32:33], v[28:29]
	s_delay_alu instid0(VALU_DEP_4) | instskip(NEXT) | instid1(VALU_DEP_4)
	v_add_f64 v[26:27], v[26:27], v[64:65]
	v_fma_f64 v[52:53], v[102:103], s[30:31], v[50:51]
	s_delay_alu instid0(VALU_DEP_4)
	v_add_f64 v[30:31], v[30:31], v[58:59]
	v_fma_f64 v[32:33], v[102:103], s[30:31], -v[50:51]
	v_mul_f64 v[58:59], v[128:129], s[46:47]
	v_mul_f64 v[50:51], v[130:131], s[30:31]
	v_add_f64 v[26:27], v[52:53], v[26:27]
	v_mul_f64 v[52:53], v[118:119], s[12:13]
	v_add_f64 v[30:31], v[32:33], v[30:31]
	s_delay_alu instid0(VALU_DEP_4) | instskip(NEXT) | instid1(VALU_DEP_3)
	v_add_f64 v[50:51], v[236:237], v[50:51]
	v_fma_f64 v[54:55], v[126:127], s[24:25], v[52:53]
	v_fma_f64 v[32:33], v[126:127], s[48:49], v[52:53]
	v_mul_f64 v[52:53], v[118:119], s[34:35]
	s_delay_alu instid0(VALU_DEP_3) | instskip(SKIP_1) | instid1(VALU_DEP_4)
	v_add_f64 v[24:25], v[54:55], v[24:25]
	v_mul_f64 v[54:55], v[138:139], s[48:49]
	v_add_f64 v[28:29], v[32:33], v[28:29]
	s_delay_alu instid0(VALU_DEP_2)
	v_fma_f64 v[56:57], v[110:111], s[12:13], v[54:55]
	v_fma_f64 v[32:33], v[110:111], s[12:13], -v[54:55]
	scratch_load_b64 v[54:55], off, off offset:232 ; 8-byte Folded Reload
	v_add_f64 v[26:27], v[56:57], v[26:27]
	v_mul_f64 v[56:57], v[130:131], s[28:29]
	v_add_f64 v[30:31], v[32:33], v[30:31]
	s_delay_alu instid0(VALU_DEP_2) | instskip(SKIP_2) | instid1(VALU_DEP_3)
	v_fma_f64 v[64:65], v[136:137], s[54:55], v[56:57]
	v_fma_f64 v[32:33], v[136:137], s[52:53], v[56:57]
	v_mul_f64 v[56:57], v[98:99], s[14:15]
	v_add_f64 v[24:25], v[64:65], v[24:25]
	v_mul_f64 v[64:65], v[144:145], s[52:53]
	s_delay_alu instid0(VALU_DEP_4) | instskip(NEXT) | instid1(VALU_DEP_2)
	v_add_f64 v[28:29], v[32:33], v[28:29]
	v_fma_f64 v[84:85], v[122:123], s[28:29], v[64:65]
	v_fma_f64 v[32:33], v[122:123], s[28:29], -v[64:65]
	v_mul_f64 v[64:65], v[106:107], s[16:17]
	s_delay_alu instid0(VALU_DEP_3) | instskip(SKIP_1) | instid1(VALU_DEP_4)
	v_add_f64 v[26:27], v[84:85], v[26:27]
	v_mul_f64 v[84:85], v[146:147], s[14:15]
	v_add_f64 v[30:31], v[32:33], v[30:31]
	s_delay_alu instid0(VALU_DEP_2) | instskip(SKIP_2) | instid1(VALU_DEP_3)
	v_fma_f64 v[86:87], v[158:159], s[18:19], v[84:85]
	v_fma_f64 v[32:33], v[158:159], s[46:47], v[84:85]
	v_mul_f64 v[84:85], v[118:119], s[28:29]
	v_add_f64 v[24:25], v[86:87], v[24:25]
	v_mul_f64 v[86:87], v[170:171], s[46:47]
	s_delay_alu instid0(VALU_DEP_4) | instskip(NEXT) | instid1(VALU_DEP_2)
	v_add_f64 v[28:29], v[32:33], v[28:29]
	v_fma_f64 v[178:179], v[140:141], s[14:15], v[86:87]
	v_fma_f64 v[32:33], v[140:141], s[14:15], -v[86:87]
	v_mul_f64 v[86:87], v[138:139], s[54:55]
	s_waitcnt vmcnt(0)
	v_add_f64 v[52:53], v[54:55], v[52:53]
	v_mul_f64 v[54:55], v[106:107], s[28:29]
	v_add_f64 v[26:27], v[178:179], v[26:27]
	v_mul_f64 v[178:179], v[154:155], s[20:21]
	v_add_f64 v[30:31], v[32:33], v[30:31]
	s_delay_alu instid0(VALU_DEP_2) | instskip(SKIP_2) | instid1(VALU_DEP_3)
	v_fma_f64 v[182:183], v[168:169], s[50:51], v[178:179]
	v_fma_f64 v[32:33], v[168:169], s[26:27], v[178:179]
	v_mul_f64 v[178:179], v[130:131], s[4:5]
	v_add_f64 v[24:25], v[182:183], v[24:25]
	v_mul_f64 v[182:183], v[172:173], s[26:27]
	s_delay_alu instid0(VALU_DEP_4) | instskip(NEXT) | instid1(VALU_DEP_2)
	v_add_f64 v[28:29], v[32:33], v[28:29]
	v_fma_f64 v[32:33], v[150:151], s[20:21], -v[182:183]
	v_fma_f64 v[184:185], v[150:151], s[20:21], v[182:183]
	v_mul_f64 v[182:183], v[144:145], s[10:11]
	s_delay_alu instid0(VALU_DEP_3) | instskip(SKIP_1) | instid1(VALU_DEP_4)
	v_add_f64 v[32:33], v[32:33], v[30:31]
	v_fma_f64 v[30:31], v[174:175], s[56:57], v[188:189]
	v_add_f64 v[184:185], v[184:185], v[26:27]
	v_fma_f64 v[26:27], v[174:175], s[22:23], v[188:189]
	v_mul_f64 v[188:189], v[170:171], s[38:39]
	s_delay_alu instid0(VALU_DEP_4)
	v_add_f64 v[30:31], v[30:31], v[28:29]
	v_add_f64 v[28:29], v[48:49], v[32:33]
	v_fma_f64 v[32:33], v[114:115], s[18:19], v[56:57]
	v_fma_f64 v[48:49], v[116:117], s[56:57], v[64:65]
	v_add_f64 v[26:27], v[26:27], v[24:25]
	v_fma_f64 v[24:25], v[160:161], s[16:17], v[204:205]
	v_mul_f64 v[204:205], v[154:155], s[12:13]
	v_fma_f64 v[56:57], v[114:115], s[46:47], v[56:57]
	v_add_f64 v[32:33], v[32:33], v[34:35]
	v_fma_f64 v[34:35], v[94:95], s[14:15], v[58:59]
	v_fma_f64 v[58:59], v[94:95], s[14:15], -v[58:59]
	v_add_f64 v[24:25], v[24:25], v[184:185]
	v_mul_f64 v[184:185], v[146:147], s[34:35]
	v_add_f64 v[56:57], v[56:57], v[72:73]
	v_add_f64 v[32:33], v[48:49], v[32:33]
	;; [unrolled: 1-line block ×3, first 2 shown]
	v_mul_f64 v[66:67], v[134:135], s[22:23]
	v_add_f64 v[58:59], v[58:59], v[60:61]
	v_fma_f64 v[60:61], v[116:117], s[22:23], v[64:65]
	v_fma_f64 v[64:65], v[160:161], s[20:21], -v[210:211]
	s_delay_alu instid0(VALU_DEP_4) | instskip(NEXT) | instid1(VALU_DEP_3)
	v_fma_f64 v[48:49], v[102:103], s[16:17], v[66:67]
	v_add_f64 v[56:57], v[60:61], v[56:57]
	v_fma_f64 v[60:61], v[102:103], s[16:17], -v[66:67]
	s_delay_alu instid0(VALU_DEP_3) | instskip(SKIP_1) | instid1(VALU_DEP_3)
	v_add_f64 v[34:35], v[48:49], v[34:35]
	v_fma_f64 v[48:49], v[126:127], s[52:53], v[84:85]
	v_add_f64 v[58:59], v[60:61], v[58:59]
	v_fma_f64 v[60:61], v[126:127], s[54:55], v[84:85]
	s_delay_alu instid0(VALU_DEP_3) | instskip(SKIP_1) | instid1(VALU_DEP_3)
	v_add_f64 v[32:33], v[48:49], v[32:33]
	v_fma_f64 v[48:49], v[110:111], s[28:29], v[86:87]
	v_add_f64 v[56:57], v[60:61], v[56:57]
	v_fma_f64 v[60:61], v[110:111], s[28:29], -v[86:87]
	scratch_load_b64 v[86:87], off, off offset:32 ; 8-byte Folded Reload
	v_add_f64 v[34:35], v[48:49], v[34:35]
	v_fma_f64 v[48:49], v[136:137], s[42:43], v[178:179]
	v_add_f64 v[58:59], v[60:61], v[58:59]
	v_fma_f64 v[60:61], v[136:137], s[10:11], v[178:179]
	s_delay_alu instid0(VALU_DEP_3) | instskip(SKIP_1) | instid1(VALU_DEP_3)
	v_add_f64 v[32:33], v[48:49], v[32:33]
	v_fma_f64 v[48:49], v[122:123], s[4:5], v[182:183]
	v_add_f64 v[56:57], v[60:61], v[56:57]
	v_fma_f64 v[60:61], v[122:123], s[4:5], -v[182:183]
	s_delay_alu instid0(VALU_DEP_3) | instskip(SKIP_1) | instid1(VALU_DEP_3)
	v_add_f64 v[34:35], v[48:49], v[34:35]
	v_fma_f64 v[48:49], v[158:159], s[44:45], v[184:185]
	v_add_f64 v[58:59], v[60:61], v[58:59]
	v_fma_f64 v[60:61], v[158:159], s[38:39], v[184:185]
	s_delay_alu instid0(VALU_DEP_3) | instskip(SKIP_1) | instid1(VALU_DEP_3)
	v_add_f64 v[32:33], v[48:49], v[32:33]
	v_fma_f64 v[48:49], v[140:141], s[34:35], v[188:189]
	v_add_f64 v[56:57], v[60:61], v[56:57]
	v_fma_f64 v[60:61], v[140:141], s[34:35], -v[188:189]
	s_delay_alu instid0(VALU_DEP_3) | instskip(SKIP_1) | instid1(VALU_DEP_3)
	v_add_f64 v[34:35], v[48:49], v[34:35]
	v_fma_f64 v[48:49], v[168:169], s[24:25], v[204:205]
	v_add_f64 v[58:59], v[60:61], v[58:59]
	v_fma_f64 v[60:61], v[168:169], s[48:49], v[204:205]
	s_delay_alu instid0(VALU_DEP_3) | instskip(SKIP_1) | instid1(VALU_DEP_3)
	v_add_f64 v[32:33], v[48:49], v[32:33]
	v_fma_f64 v[48:49], v[150:151], s[12:13], v[206:207]
	v_add_f64 v[56:57], v[60:61], v[56:57]
	v_fma_f64 v[60:61], v[150:151], s[12:13], -v[206:207]
	s_delay_alu instid0(VALU_DEP_3) | instskip(SKIP_1) | instid1(VALU_DEP_3)
	v_add_f64 v[48:49], v[48:49], v[34:35]
	v_fma_f64 v[34:35], v[174:175], s[50:51], v[208:209]
	v_add_f64 v[60:61], v[60:61], v[58:59]
	v_fma_f64 v[58:59], v[174:175], s[26:27], v[208:209]
	s_delay_alu instid0(VALU_DEP_3) | instskip(SKIP_1) | instid1(VALU_DEP_3)
	v_add_f64 v[34:35], v[34:35], v[32:33]
	v_fma_f64 v[32:33], v[160:161], s[20:21], v[210:211]
	v_add_f64 v[58:59], v[58:59], v[56:57]
	v_add_f64 v[56:57], v[64:65], v[60:61]
	s_delay_alu instid0(VALU_DEP_3) | instskip(SKIP_1) | instid1(VALU_DEP_1)
	v_add_f64 v[32:33], v[32:33], v[48:49]
	v_mul_f64 v[48:49], v[146:147], s[20:21]
	v_add_f64 v[48:49], v[104:105], v[48:49]
	scratch_load_b64 v[104:105], off, off offset:168 ; 8-byte Folded Reload
	s_waitcnt vmcnt(0)
	v_add_f64 v[54:55], v[104:105], v[54:55]
	v_mul_f64 v[104:105], v[98:99], s[16:17]
	s_delay_alu instid0(VALU_DEP_1) | instskip(SKIP_1) | instid1(VALU_DEP_2)
	v_add_f64 v[104:105], v[212:213], v[104:105]
	v_mul_f64 v[212:213], v[140:141], s[20:21]
	v_add_f64 v[36:37], v[104:105], v[36:37]
	v_mul_f64 v[104:105], v[110:111], s[34:35]
	s_delay_alu instid0(VALU_DEP_3) | instskip(NEXT) | instid1(VALU_DEP_3)
	v_add_f64 v[212:213], v[212:213], -v[228:229]
	v_add_f64 v[36:37], v[54:55], v[36:37]
	s_delay_alu instid0(VALU_DEP_3)
	v_add_f64 v[104:105], v[104:105], -v[216:217]
	scratch_load_b64 v[216:217], off, off offset:240 ; 8-byte Folded Reload
	v_mul_f64 v[54:55], v[154:155], s[14:15]
	v_add_f64 v[36:37], v[52:53], v[36:37]
	v_add_f64 v[38:39], v[104:105], v[38:39]
	scratch_load_b64 v[104:105], off, off offset:192 ; 8-byte Folded Reload
	v_mul_f64 v[52:53], v[150:151], s[14:15]
	v_add_f64 v[36:37], v[50:51], v[36:37]
	v_add_f64 v[38:39], v[214:215], v[38:39]
	;; [unrolled: 4-line block ×3, first 2 shown]
	scratch_load_b64 v[212:213], off, off offset:160 ; 8-byte Folded Reload
	v_mul_f64 v[48:49], v[160:161], s[4:5]
	s_waitcnt vmcnt(3)
	v_add_f64 v[54:55], v[216:217], v[54:55]
	s_waitcnt vmcnt(2)
	v_add_f64 v[52:53], v[52:53], -v[104:105]
	scratch_load_b64 v[104:105], off, off offset:256 ; 8-byte Folded Reload
	v_add_f64 v[36:37], v[54:55], v[36:37]
	v_mul_f64 v[54:55], v[106:107], s[34:35]
	v_add_f64 v[52:53], v[52:53], v[38:39]
	s_delay_alu instid0(VALU_DEP_2)
	v_add_f64 v[54:55], v[232:233], v[54:55]
	s_waitcnt vmcnt(0)
	v_add_f64 v[50:51], v[104:105], v[50:51]
	scratch_load_b64 v[104:105], off, off offset:200 ; 8-byte Folded Reload
	v_add_f64 v[38:39], v[50:51], v[36:37]
	v_mul_f64 v[50:51], v[130:131], s[12:13]
	s_delay_alu instid0(VALU_DEP_1) | instskip(SKIP_4) | instid1(VALU_DEP_2)
	v_add_f64 v[50:51], v[152:153], v[50:51]
	scratch_load_b64 v[152:153], off, off offset:224 ; 8-byte Folded Reload
	s_waitcnt vmcnt(1)
	v_add_f64 v[48:49], v[48:49], -v[104:105]
	v_mul_f64 v[104:105], v[98:99], s[28:29]
	v_add_f64 v[36:37], v[48:49], v[52:53]
	v_mul_f64 v[48:49], v[146:147], s[4:5]
	v_mul_f64 v[52:53], v[118:119], s[20:21]
	s_delay_alu instid0(VALU_DEP_2)
	v_add_f64 v[48:49], v[192:193], v[48:49]
	v_mul_f64 v[192:193], v[94:95], s[28:29]
	s_waitcnt vmcnt(0)
	v_add_f64 v[104:105], v[152:153], v[104:105]
	v_mul_f64 v[152:153], v[140:141], s[4:5]
	v_add_f64 v[52:53], v[248:249], v[52:53]
	s_delay_alu instid0(VALU_DEP_4)
	v_add_f64 v[192:193], v[192:193], -v[212:213]
	v_mul_f64 v[212:213], v[102:103], s[34:35]
	v_add_f64 v[40:41], v[104:105], v[40:41]
	v_mul_f64 v[104:105], v[110:111], s[20:21]
	v_add_f64 v[112:113], v[152:153], -v[112:113]
	v_mul_f64 v[152:153], v[122:123], s[12:13]
	v_add_f64 v[42:43], v[192:193], v[42:43]
	scratch_load_b64 v[192:193], off, off offset:216 ; 8-byte Folded Reload
	v_add_f64 v[212:213], v[212:213], -v[214:215]
	v_add_f64 v[40:41], v[54:55], v[40:41]
	v_mul_f64 v[54:55], v[154:155], s[16:17]
	v_add_f64 v[152:153], v[152:153], -v[242:243]
	s_delay_alu instid0(VALU_DEP_4) | instskip(NEXT) | instid1(VALU_DEP_4)
	v_add_f64 v[42:43], v[212:213], v[42:43]
	v_add_f64 v[40:41], v[52:53], v[40:41]
	v_mul_f64 v[52:53], v[150:151], s[16:17]
	v_add_f64 v[54:55], v[250:251], v[54:55]
	s_delay_alu instid0(VALU_DEP_3) | instskip(NEXT) | instid1(VALU_DEP_3)
	v_add_f64 v[40:41], v[50:51], v[40:41]
	v_add_f64 v[52:53], v[52:53], -v[238:239]
	v_mul_f64 v[50:51], v[164:165], s[30:31]
	s_delay_alu instid0(VALU_DEP_3) | instskip(SKIP_1) | instid1(VALU_DEP_3)
	v_add_f64 v[40:41], v[48:49], v[40:41]
	v_mul_f64 v[48:49], v[160:161], s[30:31]
	v_add_f64 v[50:51], v[246:247], v[50:51]
	s_delay_alu instid0(VALU_DEP_3) | instskip(NEXT) | instid1(VALU_DEP_3)
	v_add_f64 v[40:41], v[54:55], v[40:41]
	v_add_f64 v[48:49], v[48:49], -v[230:231]
	v_mul_f64 v[54:55], v[106:107], s[20:21]
	s_delay_alu instid0(VALU_DEP_1) | instskip(SKIP_2) | instid1(VALU_DEP_1)
	v_add_f64 v[54:55], v[254:255], v[54:55]
	s_waitcnt vmcnt(0)
	v_add_f64 v[104:105], v[104:105], -v[192:193]
	v_add_f64 v[42:43], v[104:105], v[42:43]
	v_mul_f64 v[104:105], v[98:99], s[34:35]
	s_delay_alu instid0(VALU_DEP_2) | instskip(SKIP_4) | instid1(VALU_DEP_3)
	v_add_f64 v[42:43], v[152:153], v[42:43]
	scratch_load_b64 v[152:153], off, off offset:208 ; 8-byte Folded Reload
	v_add_f64 v[104:105], v[234:235], v[104:105]
	v_add_f64 v[42:43], v[112:113], v[42:43]
	v_mul_f64 v[112:113], v[140:141], s[30:31]
	v_add_f64 v[44:45], v[104:105], v[44:45]
	v_mul_f64 v[104:105], v[110:111], s[4:5]
	s_delay_alu instid0(VALU_DEP_4) | instskip(NEXT) | instid1(VALU_DEP_4)
	v_add_f64 v[52:53], v[52:53], v[42:43]
	v_add_f64 v[112:113], v[112:113], -v[162:163]
	scratch_load_b64 v[162:163], off, off offset:248 ; 8-byte Folded Reload
	v_add_f64 v[42:43], v[50:51], v[40:41]
	v_mul_f64 v[50:51], v[130:131], s[14:15]
	v_add_f64 v[104:105], v[104:105], -v[226:227]
	v_add_f64 v[44:45], v[54:55], v[44:45]
	v_mul_f64 v[54:55], v[154:155], s[28:29]
	v_add_f64 v[40:41], v[48:49], v[52:53]
	v_mul_f64 v[52:53], v[118:119], s[4:5]
	v_mul_f64 v[48:49], v[146:147], s[30:31]
	v_add_f64 v[50:51], v[180:181], v[50:51]
	v_add_f64 v[54:55], v[132:133], v[54:55]
	s_delay_alu instid0(VALU_DEP_4) | instskip(SKIP_2) | instid1(VALU_DEP_3)
	v_add_f64 v[52:53], v[124:125], v[52:53]
	v_mul_f64 v[124:125], v[122:123], s[14:15]
	v_add_f64 v[48:49], v[198:199], v[48:49]
	v_add_f64 v[44:45], v[52:53], v[44:45]
	s_delay_alu instid0(VALU_DEP_3) | instskip(SKIP_2) | instid1(VALU_DEP_4)
	v_add_f64 v[108:109], v[124:125], -v[108:109]
	v_mul_f64 v[124:125], v[94:95], s[34:35]
	v_mul_f64 v[52:53], v[150:151], s[28:29]
	v_add_f64 v[44:45], v[50:51], v[44:45]
	v_mul_f64 v[50:51], v[164:165], s[12:13]
	s_delay_alu instid0(VALU_DEP_3) | instskip(SKIP_1) | instid1(VALU_DEP_4)
	v_add_f64 v[52:53], v[52:53], -v[100:101]
	v_mul_f64 v[100:101], v[98:99], s[30:31]
	v_add_f64 v[44:45], v[48:49], v[44:45]
	v_mul_f64 v[48:49], v[160:161], s[12:13]
	v_add_f64 v[50:51], v[120:121], v[50:51]
	s_delay_alu instid0(VALU_DEP_4)
	v_add_f64 v[96:97], v[96:97], v[100:101]
	v_mul_f64 v[100:101], v[140:141], s[16:17]
	v_add_f64 v[44:45], v[54:55], v[44:45]
	v_add_f64 v[48:49], v[48:49], -v[252:253]
	v_mul_f64 v[54:55], v[106:107], s[12:13]
	v_add_f64 v[78:79], v[96:97], v[78:79]
	v_mul_f64 v[96:97], v[110:111], s[14:15]
	v_add_f64 v[100:101], v[100:101], -v[196:197]
	s_waitcnt vmcnt(1)
	v_add_f64 v[124:125], v[124:125], -v[152:153]
	v_mul_f64 v[152:153], v[102:103], s[20:21]
	v_add_f64 v[54:55], v[148:149], v[54:55]
	v_add_f64 v[96:97], v[96:97], -v[244:245]
	s_delay_alu instid0(VALU_DEP_4) | instskip(NEXT) | instid1(VALU_DEP_3)
	v_add_f64 v[46:47], v[124:125], v[46:47]
	v_add_f64 v[54:55], v[54:55], v[78:79]
	s_waitcnt vmcnt(0)
	v_add_f64 v[152:153], v[152:153], -v[162:163]
	s_delay_alu instid0(VALU_DEP_1) | instskip(NEXT) | instid1(VALU_DEP_1)
	v_add_f64 v[46:47], v[152:153], v[46:47]
	v_add_f64 v[46:47], v[104:105], v[46:47]
	v_mul_f64 v[104:105], v[122:123], s[34:35]
	s_delay_alu instid0(VALU_DEP_2) | instskip(SKIP_1) | instid1(VALU_DEP_3)
	v_add_f64 v[46:47], v[108:109], v[46:47]
	v_mul_f64 v[108:109], v[94:95], s[30:31]
	v_add_f64 v[104:105], v[104:105], -v[166:167]
	s_delay_alu instid0(VALU_DEP_3) | instskip(NEXT) | instid1(VALU_DEP_3)
	v_add_f64 v[46:47], v[112:113], v[46:47]
	v_add_f64 v[108:109], v[108:109], -v[224:225]
	v_mul_f64 v[112:113], v[102:103], s[12:13]
	s_delay_alu instid0(VALU_DEP_3) | instskip(SKIP_1) | instid1(VALU_DEP_3)
	v_add_f64 v[52:53], v[52:53], v[46:47]
	v_add_f64 v[46:47], v[50:51], v[44:45]
	v_add_f64 v[112:113], v[112:113], -v[240:241]
	v_add_f64 v[80:81], v[108:109], v[80:81]
	v_mul_f64 v[50:51], v[130:131], s[34:35]
	v_add_f64 v[44:45], v[48:49], v[52:53]
	v_mul_f64 v[52:53], v[118:119], s[14:15]
	v_mul_f64 v[48:49], v[146:147], s[16:17]
	v_add_f64 v[78:79], v[112:113], v[80:81]
	v_add_f64 v[50:51], v[200:201], v[50:51]
	v_mul_f64 v[80:81], v[154:155], s[4:5]
	v_add_f64 v[52:53], v[190:191], v[52:53]
	v_add_f64 v[48:49], v[202:203], v[48:49]
	s_delay_alu instid0(VALU_DEP_3) | instskip(NEXT) | instid1(VALU_DEP_3)
	v_add_f64 v[80:81], v[194:195], v[80:81]
	v_add_f64 v[52:53], v[52:53], v[54:55]
	;; [unrolled: 1-line block ×3, first 2 shown]
	v_mul_f64 v[78:79], v[150:151], s[4:5]
	s_delay_alu instid0(VALU_DEP_3) | instskip(NEXT) | instid1(VALU_DEP_3)
	v_add_f64 v[50:51], v[50:51], v[52:53]
	v_add_f64 v[52:53], v[104:105], v[54:55]
	s_delay_alu instid0(VALU_DEP_3) | instskip(SKIP_1) | instid1(VALU_DEP_4)
	v_add_f64 v[78:79], v[78:79], -v[156:157]
	v_mul_f64 v[54:55], v[164:165], s[28:29]
	v_add_f64 v[48:49], v[48:49], v[50:51]
	s_delay_alu instid0(VALU_DEP_4) | instskip(SKIP_1) | instid1(VALU_DEP_4)
	v_add_f64 v[50:51], v[100:101], v[52:53]
	v_mul_f64 v[52:53], v[160:161], s[28:29]
	v_add_f64 v[54:55], v[186:187], v[54:55]
	s_delay_alu instid0(VALU_DEP_4) | instskip(NEXT) | instid1(VALU_DEP_4)
	v_add_f64 v[48:49], v[80:81], v[48:49]
	v_add_f64 v[78:79], v[78:79], v[50:51]
	s_delay_alu instid0(VALU_DEP_4) | instskip(NEXT) | instid1(VALU_DEP_3)
	v_add_f64 v[52:53], v[52:53], -v[142:143]
	v_add_f64 v[50:51], v[54:55], v[48:49]
	s_delay_alu instid0(VALU_DEP_2) | instskip(SKIP_1) | instid1(VALU_DEP_1)
	v_add_f64 v[48:49], v[52:53], v[78:79]
	v_mul_f64 v[78:79], v[98:99], s[20:21]
	v_fma_f64 v[52:53], v[114:115], s[50:51], v[78:79]
	v_fma_f64 v[60:61], v[114:115], s[26:27], v[78:79]
	s_delay_alu instid0(VALU_DEP_2) | instskip(SKIP_1) | instid1(VALU_DEP_3)
	v_add_f64 v[52:53], v[52:53], v[76:77]
	v_mul_f64 v[76:77], v[128:129], s[50:51]
	v_add_f64 v[60:61], v[60:61], v[74:75]
	s_delay_alu instid0(VALU_DEP_2)
	v_fma_f64 v[54:55], v[94:95], s[20:21], -v[76:77]
	v_fma_f64 v[74:75], v[94:95], s[20:21], v[76:77]
	scratch_load_b64 v[76:77], off, off offset:8 ; 8-byte Folded Reload
	v_add_f64 v[54:55], v[54:55], v[62:63]
	v_mul_f64 v[62:63], v[106:107], s[4:5]
	v_add_f64 v[68:69], v[74:75], v[68:69]
	scratch_load_b64 v[74:75], off, off offset:24 ; 8-byte Folded Reload
	v_fma_f64 v[80:81], v[116:117], s[10:11], v[62:63]
	v_fma_f64 v[62:63], v[116:117], s[42:43], v[62:63]
	s_delay_alu instid0(VALU_DEP_2) | instskip(SKIP_1) | instid1(VALU_DEP_3)
	v_add_f64 v[52:53], v[80:81], v[52:53]
	v_mul_f64 v[80:81], v[134:135], s[10:11]
	v_add_f64 v[60:61], v[62:63], v[60:61]
	v_mul_f64 v[134:135], v[176:177], s[46:47]
	s_delay_alu instid0(VALU_DEP_3) | instskip(SKIP_1) | instid1(VALU_DEP_2)
	v_fma_f64 v[96:97], v[102:103], s[4:5], -v[80:81]
	v_fma_f64 v[62:63], v[102:103], s[4:5], v[80:81]
	v_add_f64 v[54:55], v[96:97], v[54:55]
	v_mul_f64 v[96:97], v[118:119], s[30:31]
	s_delay_alu instid0(VALU_DEP_3) | instskip(NEXT) | instid1(VALU_DEP_2)
	v_add_f64 v[62:63], v[62:63], v[68:69]
	v_fma_f64 v[100:101], v[126:127], s[40:41], v[96:97]
	v_fma_f64 v[78:79], v[126:127], s[36:37], v[96:97]
	s_delay_alu instid0(VALU_DEP_2) | instskip(SKIP_1) | instid1(VALU_DEP_3)
	v_add_f64 v[52:53], v[100:101], v[52:53]
	v_mul_f64 v[100:101], v[138:139], s[40:41]
	v_add_f64 v[60:61], v[78:79], v[60:61]
	v_mul_f64 v[138:139], v[164:165], s[14:15]
	scratch_load_b64 v[78:79], off, off offset:64 ; 8-byte Folded Reload
	v_fma_f64 v[104:105], v[110:111], s[30:31], -v[100:101]
	v_fma_f64 v[68:69], v[110:111], s[30:31], v[100:101]
	v_fma_f64 v[84:85], v[174:175], s[18:19], v[138:139]
	s_delay_alu instid0(VALU_DEP_3) | instskip(SKIP_1) | instid1(VALU_DEP_4)
	v_add_f64 v[54:55], v[104:105], v[54:55]
	v_mul_f64 v[104:105], v[130:131], s[16:17]
	v_add_f64 v[62:63], v[68:69], v[62:63]
	s_delay_alu instid0(VALU_DEP_2) | instskip(SKIP_1) | instid1(VALU_DEP_2)
	v_fma_f64 v[108:109], v[136:137], s[56:57], v[104:105]
	v_fma_f64 v[72:73], v[136:137], s[22:23], v[104:105]
	v_add_f64 v[52:53], v[108:109], v[52:53]
	v_mul_f64 v[108:109], v[144:145], s[56:57]
	s_delay_alu instid0(VALU_DEP_3) | instskip(SKIP_3) | instid1(VALU_DEP_2)
	v_add_f64 v[60:61], v[72:73], v[60:61]
	scratch_load_b64 v[72:73], off, off offset:40 ; 8-byte Folded Reload
	v_fma_f64 v[112:113], v[122:123], s[16:17], -v[108:109]
	v_fma_f64 v[68:69], v[122:123], s[16:17], v[108:109]
	v_add_f64 v[54:55], v[112:113], v[54:55]
	v_mul_f64 v[112:113], v[146:147], s[12:13]
	s_delay_alu instid0(VALU_DEP_3) | instskip(SKIP_3) | instid1(VALU_DEP_2)
	v_add_f64 v[62:63], v[68:69], v[62:63]
	scratch_load_b64 v[68:69], off, off offset:56 ; 8-byte Folded Reload
	v_fma_f64 v[120:121], v[158:159], s[24:25], v[112:113]
	v_fma_f64 v[66:67], v[158:159], s[48:49], v[112:113]
	v_add_f64 v[52:53], v[120:121], v[52:53]
	v_mul_f64 v[120:121], v[170:171], s[24:25]
	s_delay_alu instid0(VALU_DEP_3) | instskip(NEXT) | instid1(VALU_DEP_2)
	v_add_f64 v[60:61], v[66:67], v[60:61]
	v_fma_f64 v[124:125], v[140:141], s[12:13], -v[120:121]
	v_fma_f64 v[66:67], v[140:141], s[12:13], v[120:121]
	s_delay_alu instid0(VALU_DEP_2) | instskip(SKIP_1) | instid1(VALU_DEP_3)
	v_add_f64 v[54:55], v[124:125], v[54:55]
	v_mul_f64 v[124:125], v[154:155], s[34:35]
	v_add_f64 v[62:63], v[66:67], v[62:63]
	v_fma_f64 v[66:67], v[160:161], s[14:15], v[134:135]
	s_delay_alu instid0(VALU_DEP_3) | instskip(SKIP_1) | instid1(VALU_DEP_2)
	v_fma_f64 v[128:129], v[168:169], s[38:39], v[124:125]
	v_fma_f64 v[64:65], v[168:169], s[44:45], v[124:125]
	v_add_f64 v[52:53], v[128:129], v[52:53]
	v_mul_f64 v[128:129], v[172:173], s[38:39]
	s_delay_alu instid0(VALU_DEP_3) | instskip(NEXT) | instid1(VALU_DEP_2)
	v_add_f64 v[60:61], v[64:65], v[60:61]
	v_fma_f64 v[64:65], v[150:151], s[34:35], v[128:129]
	v_fma_f64 v[132:133], v[150:151], s[34:35], -v[128:129]
	s_delay_alu instid0(VALU_DEP_2) | instskip(NEXT) | instid1(VALU_DEP_4)
	v_add_f64 v[64:65], v[64:65], v[62:63]
	v_add_f64 v[62:63], v[84:85], v[60:61]
	s_clause 0x1
	scratch_load_b64 v[84:85], off, off offset:16
	scratch_load_b64 v[80:81], off, off
	v_add_f64 v[132:133], v[132:133], v[54:55]
	v_fma_f64 v[54:55], v[174:175], s[46:47], v[138:139]
	v_add_f64 v[60:61], v[66:67], v[64:65]
	scratch_load_b64 v[66:67], off, off offset:72 ; 8-byte Folded Reload
	v_mul_f64 v[64:65], v[146:147], s[28:29]
	v_add_f64 v[54:55], v[54:55], v[52:53]
	v_fma_f64 v[52:53], v[160:161], s[14:15], -v[134:135]
	s_delay_alu instid0(VALU_DEP_1) | instskip(SKIP_1) | instid1(VALU_DEP_4)
	v_add_f64 v[52:53], v[52:53], v[132:133]
	s_waitcnt vmcnt(0)
	v_add_f64 v[64:65], v[66:67], v[64:65]
	v_mul_f64 v[66:67], v[130:131], s[20:21]
	s_delay_alu instid0(VALU_DEP_1) | instskip(SKIP_1) | instid1(VALU_DEP_1)
	v_add_f64 v[66:67], v[68:69], v[66:67]
	v_mul_f64 v[68:69], v[118:119], s[16:17]
	v_add_f64 v[68:69], v[72:73], v[68:69]
	v_mul_f64 v[72:73], v[106:107], s[14:15]
	s_delay_alu instid0(VALU_DEP_1) | instskip(SKIP_1) | instid1(VALU_DEP_1)
	v_add_f64 v[72:73], v[74:75], v[72:73]
	v_mul_f64 v[74:75], v[98:99], s[12:13]
	v_add_f64 v[74:75], v[76:77], v[74:75]
	v_mul_f64 v[76:77], v[140:141], s[28:29]
	s_delay_alu instid0(VALU_DEP_2)
	v_add_f64 v[74:75], v[74:75], v[82:83]
	scratch_load_b64 v[82:83], off, off offset:48 ; 8-byte Folded Reload
	v_add_f64 v[76:77], v[76:77], -v[78:79]
	v_mul_f64 v[78:79], v[94:95], s[12:13]
	v_add_f64 v[72:73], v[72:73], v[74:75]
	v_mul_f64 v[74:75], v[154:155], s[30:31]
	s_delay_alu instid0(VALU_DEP_3) | instskip(SKIP_1) | instid1(VALU_DEP_4)
	v_add_f64 v[78:79], v[78:79], -v[80:81]
	v_mul_f64 v[80:81], v[102:103], s[14:15]
	v_add_f64 v[68:69], v[68:69], v[72:73]
	v_mul_f64 v[72:73], v[150:151], s[30:31]
	s_delay_alu instid0(VALU_DEP_4) | instskip(NEXT) | instid1(VALU_DEP_4)
	v_add_f64 v[70:71], v[78:79], v[70:71]
	v_add_f64 v[80:81], v[80:81], -v[84:85]
	v_mul_f64 v[84:85], v[110:111], s[16:17]
	v_mul_f64 v[78:79], v[122:123], s[20:21]
	v_add_f64 v[66:67], v[66:67], v[68:69]
	s_delay_alu instid0(VALU_DEP_4) | instskip(SKIP_3) | instid1(VALU_DEP_2)
	v_add_f64 v[70:71], v[80:81], v[70:71]
	scratch_load_b64 v[80:81], off, off offset:88 ; 8-byte Folded Reload
	v_add_f64 v[84:85], v[84:85], -v[86:87]
	v_add_f64 v[64:65], v[64:65], v[66:67]
	v_add_f64 v[70:71], v[84:85], v[70:71]
	s_waitcnt vmcnt(1)
	v_add_f64 v[78:79], v[78:79], -v[82:83]
	s_delay_alu instid0(VALU_DEP_1)
	v_add_f64 v[68:69], v[78:79], v[70:71]
	scratch_load_b64 v[78:79], off, off offset:104 ; 8-byte Folded Reload
	v_mul_f64 v[70:71], v[164:165], s[34:35]
	v_add_f64 v[66:67], v[76:77], v[68:69]
	v_mul_f64 v[68:69], v[160:161], s[34:35]
	scratch_load_b64 v[76:77], off, off offset:96 ; 8-byte Folded Reload
	s_waitcnt vmcnt(2)
	v_add_f64 v[74:75], v[80:81], v[74:75]
	scratch_load_b64 v[80:81], off, off offset:80 ; 8-byte Folded Reload
	v_add_f64 v[64:65], v[74:75], v[64:65]
	s_waitcnt vmcnt(2)
	v_add_f64 v[70:71], v[78:79], v[70:71]
	s_waitcnt vmcnt(1)
	v_add_f64 v[68:69], v[68:69], -v[76:77]
	s_waitcnt vmcnt(0)
	v_add_f64 v[72:73], v[72:73], -v[80:81]
	s_delay_alu instid0(VALU_DEP_1) | instskip(NEXT) | instid1(VALU_DEP_4)
	v_add_f64 v[72:73], v[72:73], v[66:67]
	v_add_f64 v[66:67], v[70:71], v[64:65]
	s_delay_alu instid0(VALU_DEP_2)
	v_add_f64 v[64:65], v[68:69], v[72:73]
	v_lshl_add_u32 v68, v90, 8, v220
	ds_store_b128 v68, v[36:39] offset:32
	ds_store_b128 v68, v[40:43] offset:48
	;; [unrolled: 1-line block ×15, first 2 shown]
	ds_store_b128 v68, v[20:23]
	ds_store_b128 v68, v[0:3] offset:256
.LBB0_21:
	s_or_b32 exec_lo, exec_lo, s1
	v_and_b32_e32 v79, 0xff, v90
	v_add_nc_u32_e32 v80, 0xaa, v90
	v_add_nc_u32_e32 v20, 0x154, v90
	s_waitcnt lgkmcnt(0)
	s_barrier
	v_mul_lo_u16 v21, 0xf1, v79
	v_and_b32_e32 v23, 0xffff, v80
	buffer_gl0_inv
	v_add_nc_u32_e32 v87, 0x1fe, v90
	s_mov_b32 s0, 0xe8584caa
	v_lshrrev_b16 v22, 12, v21
	v_mul_u32_u24_e32 v21, 0xf0f1, v23
	v_and_b32_e32 v23, 0xffff, v20
	s_mov_b32 s1, 0x3febb67a
	s_mov_b32 s5, 0xbfebb67a
	v_mul_lo_u16 v24, v22, 17
	v_lshrrev_b32_e32 v26, 20, v21
	v_mul_u32_u24_e32 v28, 0xf0f1, v23
	v_and_b32_e32 v22, 0xffff, v22
	s_mov_b32 s4, s0
	v_sub_nc_u16 v23, v90, v24
	v_mul_lo_u16 v24, v26, 17
	v_lshrrev_b32_e32 v25, 20, v28
	s_delay_alu instid0(VALU_DEP_3) | instskip(NEXT) | instid1(VALU_DEP_3)
	v_and_b32_e32 v23, 0xff, v23
	v_sub_nc_u16 v24, v80, v24
	s_delay_alu instid0(VALU_DEP_3) | instskip(SKIP_1) | instid1(VALU_DEP_4)
	v_mul_lo_u16 v27, v25, 17
	v_mul_u32_u24_e32 v25, 0x440, v25
	v_mul_u32_u24_e32 v29, 3, v23
	s_delay_alu instid0(VALU_DEP_4) | instskip(NEXT) | instid1(VALU_DEP_4)
	v_and_b32_e32 v24, 0xffff, v24
	v_sub_nc_u16 v27, v20, v27
	v_lshlrev_b32_e32 v23, 4, v23
	s_delay_alu instid0(VALU_DEP_4) | instskip(NEXT) | instid1(VALU_DEP_4)
	v_lshlrev_b32_e32 v37, 4, v29
	v_mul_u32_u24_e32 v38, 3, v24
	s_delay_alu instid0(VALU_DEP_4)
	v_and_b32_e32 v27, 0xffff, v27
	v_lshlrev_b32_e32 v24, 4, v24
	s_clause 0x1
	global_load_b128 v[29:32], v37, s[8:9] offset:16
	global_load_b128 v[33:36], v37, s[8:9]
	v_lshlrev_b32_e32 v49, 4, v38
	v_mul_u32_u24_e32 v45, 3, v27
	s_clause 0x1
	global_load_b128 v[37:40], v37, s[8:9] offset:32
	global_load_b128 v[41:44], v49, s[8:9]
	v_lshlrev_b32_e32 v61, 4, v45
	s_clause 0x4
	global_load_b128 v[45:48], v49, s[8:9] offset:16
	global_load_b128 v[49:52], v49, s[8:9] offset:32
	global_load_b128 v[53:56], v61, s[8:9]
	global_load_b128 v[57:60], v61, s[8:9] offset:16
	global_load_b128 v[61:64], v61, s[8:9] offset:32
	ds_load_b128 v[65:68], v220 offset:8160
	ds_load_b128 v[69:72], v220 offset:16320
	;; [unrolled: 1-line block ×10, first 2 shown]
	s_waitcnt vmcnt(8) lgkmcnt(8)
	v_mul_f64 v[85:86], v[71:72], v[31:32]
	s_waitcnt vmcnt(7)
	v_mul_f64 v[77:78], v[67:68], v[35:36]
	v_mul_f64 v[35:36], v[65:66], v[35:36]
	;; [unrolled: 1-line block ×3, first 2 shown]
	s_waitcnt vmcnt(6) lgkmcnt(7)
	v_mul_f64 v[118:119], v[75:76], v[39:40]
	v_mul_f64 v[39:40], v[73:74], v[39:40]
	s_waitcnt vmcnt(5) lgkmcnt(6)
	v_mul_f64 v[120:121], v[83:84], v[43:44]
	v_mul_f64 v[43:44], v[81:82], v[43:44]
	;; [unrolled: 3-line block ×7, first 2 shown]
	v_fma_f64 v[69:70], v[69:70], v[29:30], -v[85:86]
	v_fma_f64 v[65:66], v[65:66], v[33:34], -v[77:78]
	v_fma_f64 v[67:68], v[67:68], v[33:34], v[35:36]
	v_fma_f64 v[71:72], v[71:72], v[29:30], v[31:32]
	ds_load_b128 v[29:32], v220
	ds_load_b128 v[33:36], v220 offset:2720
	v_fma_f64 v[73:74], v[73:74], v[37:38], -v[118:119]
	v_fma_f64 v[37:38], v[75:76], v[37:38], v[39:40]
	v_fma_f64 v[39:40], v[81:82], v[41:42], -v[120:121]
	v_fma_f64 v[41:42], v[83:84], v[41:42], v[43:44]
	;; [unrolled: 2-line block ×7, first 2 shown]
	v_lshrrev_b32_e32 v108, 22, v21
	v_lshrrev_b32_e32 v109, 22, v28
	v_mul_u32_u24_e32 v21, 0x440, v22
	v_mul_u32_u24_e32 v22, 0x440, v26
	s_waitcnt lgkmcnt(0)
	v_mul_lo_u16 v28, 0x44, v108
	s_barrier
	buffer_gl0_inv
	v_add_f64 v[63:64], v[29:30], -v[69:70]
	v_add_f64 v[69:70], v[31:32], -v[71:72]
	;; [unrolled: 1-line block ×12, first 2 shown]
	v_fma_f64 v[59:60], v[29:30], 2.0, -v[63:64]
	v_fma_f64 v[83:84], v[31:32], 2.0, -v[69:70]
	v_fma_f64 v[49:50], v[65:66], 2.0, -v[71:72]
	v_fma_f64 v[57:58], v[67:68], 2.0, -v[37:38]
	v_add_f64 v[29:30], v[63:64], -v[37:38]
	v_add_f64 v[31:32], v[69:70], v[71:72]
	v_fma_f64 v[67:68], v[33:34], 2.0, -v[73:74]
	v_fma_f64 v[85:86], v[35:36], 2.0, -v[75:76]
	v_fma_f64 v[61:62], v[39:40], 2.0, -v[43:44]
	v_fma_f64 v[65:66], v[41:42], 2.0, -v[45:46]
	v_add_f64 v[33:34], v[73:74], -v[45:46]
	v_add_f64 v[35:36], v[75:76], v[43:44]
	;; [unrolled: 6-line block ×3, first 2 shown]
	v_add_f64 v[37:38], v[59:60], -v[49:50]
	v_add_f64 v[39:40], v[83:84], -v[57:58]
	v_fma_f64 v[55:56], v[69:70], 2.0, -v[31:32]
	v_add_f64 v[45:46], v[67:68], -v[61:62]
	v_add_f64 v[47:48], v[85:86], -v[65:66]
	v_fma_f64 v[57:58], v[73:74], 2.0, -v[33:34]
	v_add_f64 v[49:50], v[94:95], -v[51:52]
	v_add_f64 v[51:52], v[96:97], -v[53:54]
	v_mul_lo_u16 v53, 0x79, v79
	v_and_b32_e32 v54, 0xffff, v87
	v_fma_f64 v[65:66], v[77:78], 2.0, -v[41:42]
	s_delay_alu instid0(VALU_DEP_3) | instskip(NEXT) | instid1(VALU_DEP_3)
	v_lshrrev_b16 v91, 13, v53
	v_mul_u32_u24_e32 v79, 0xf0f1, v54
	v_fma_f64 v[53:54], v[63:64], 2.0, -v[29:30]
	s_delay_alu instid0(VALU_DEP_3) | instskip(NEXT) | instid1(VALU_DEP_3)
	v_mul_lo_u16 v77, 0x44, v91
	v_lshrrev_b32_e32 v110, 22, v79
	s_delay_alu instid0(VALU_DEP_2) | instskip(SKIP_1) | instid1(VALU_DEP_3)
	v_sub_nc_u16 v26, v90, v77
	v_mul_lo_u16 v77, 0x44, v109
	v_mul_lo_u16 v78, 0x44, v110
	s_delay_alu instid0(VALU_DEP_3) | instskip(SKIP_1) | instid1(VALU_DEP_4)
	v_and_b32_e32 v111, 0xff, v26
	v_sub_nc_u16 v26, v80, v28
	v_sub_nc_u16 v20, v20, v77
	s_delay_alu instid0(VALU_DEP_4)
	v_sub_nc_u16 v28, v87, v78
	v_fma_f64 v[61:62], v[59:60], 2.0, -v[37:38]
	v_fma_f64 v[63:64], v[83:84], 2.0, -v[39:40]
	;; [unrolled: 1-line block ×3, first 2 shown]
	v_and_b32_e32 v87, 0xffff, v26
	v_lshlrev_b32_e32 v26, 4, v27
	v_lshlrev_b32_e32 v77, 5, v111
	v_fma_f64 v[69:70], v[67:68], 2.0, -v[45:46]
	v_fma_f64 v[71:72], v[85:86], 2.0, -v[47:48]
	;; [unrolled: 1-line block ×3, first 2 shown]
	v_and_b32_e32 v112, 0xffff, v20
	v_add3_u32 v20, 0, v21, v23
	v_lshlrev_b32_e32 v78, 5, v87
	v_fma_f64 v[73:74], v[94:95], 2.0, -v[49:50]
	v_fma_f64 v[75:76], v[96:97], 2.0, -v[51:52]
	v_add3_u32 v21, 0, v22, v24
	v_add3_u32 v22, 0, v25, v26
	v_and_b32_e32 v113, 0xffff, v28
	ds_store_b128 v20, v[37:40] offset:544
	ds_store_b128 v20, v[29:32] offset:816
	ds_store_b128 v20, v[61:64]
	ds_store_b128 v20, v[53:56] offset:272
	ds_store_b128 v21, v[45:48] offset:544
	;; [unrolled: 1-line block ×3, first 2 shown]
	ds_store_b128 v21, v[69:72]
	ds_store_b128 v21, v[57:60] offset:272
	ds_store_b128 v22, v[73:76]
	ds_store_b128 v22, v[65:68] offset:272
	ds_store_b128 v22, v[49:52] offset:544
	;; [unrolled: 1-line block ×3, first 2 shown]
	s_waitcnt lgkmcnt(0)
	s_barrier
	buffer_gl0_inv
	s_clause 0x1
	global_load_b128 v[20:23], v77, s[8:9] offset:816
	global_load_b128 v[24:27], v77, s[8:9] offset:832
	v_lshlrev_b32_e32 v40, 5, v112
	s_clause 0x1
	global_load_b128 v[28:31], v78, s[8:9] offset:816
	global_load_b128 v[32:35], v78, s[8:9] offset:832
	v_lshlrev_b32_e32 v48, 5, v113
	s_clause 0x3
	global_load_b128 v[36:39], v40, s[8:9] offset:816
	global_load_b128 v[40:43], v40, s[8:9] offset:832
	;; [unrolled: 1-line block ×4, first 2 shown]
	ds_load_b128 v[52:55], v220 offset:10880
	ds_load_b128 v[56:59], v220 offset:21760
	;; [unrolled: 1-line block ×8, first 2 shown]
	s_waitcnt vmcnt(7) lgkmcnt(7)
	v_mul_f64 v[85:86], v[54:55], v[22:23]
	v_mul_f64 v[22:23], v[52:53], v[22:23]
	s_waitcnt vmcnt(6) lgkmcnt(6)
	v_mul_f64 v[94:95], v[58:59], v[26:27]
	v_mul_f64 v[26:27], v[56:57], v[26:27]
	;; [unrolled: 3-line block ×8, first 2 shown]
	v_fma_f64 v[52:53], v[52:53], v[20:21], -v[85:86]
	v_fma_f64 v[54:55], v[54:55], v[20:21], v[22:23]
	v_fma_f64 v[56:57], v[56:57], v[24:25], -v[94:95]
	v_fma_f64 v[58:59], v[58:59], v[24:25], v[26:27]
	;; [unrolled: 2-line block ×8, first 2 shown]
	ds_load_b128 v[20:23], v220
	ds_load_b128 v[24:27], v220 offset:2720
	ds_load_b128 v[28:31], v220 offset:5440
	;; [unrolled: 1-line block ×3, first 2 shown]
	s_waitcnt lgkmcnt(0)
	s_barrier
	buffer_gl0_inv
	v_add_f64 v[85:86], v[20:21], v[52:53]
	v_add_f64 v[50:51], v[52:53], v[56:57]
	;; [unrolled: 1-line block ×3, first 2 shown]
	v_add_f64 v[94:95], v[54:55], -v[58:59]
	v_add_f64 v[54:55], v[22:23], v[54:55]
	v_add_f64 v[72:73], v[60:61], v[64:65]
	;; [unrolled: 1-line block ×13, first 2 shown]
	v_add_f64 v[62:63], v[62:63], -v[66:67]
	v_add_f64 v[60:61], v[60:61], -v[64:65]
	;; [unrolled: 1-line block ×3, first 2 shown]
	v_fma_f64 v[20:21], v[50:51], -0.5, v[20:21]
	v_add_f64 v[50:51], v[52:53], -v[56:57]
	v_fma_f64 v[22:23], v[70:71], -0.5, v[22:23]
	v_add_f64 v[70:71], v[36:37], -v[40:41]
	v_fma_f64 v[24:25], v[72:73], -0.5, v[24:25]
	v_fma_f64 v[26:27], v[74:75], -0.5, v[26:27]
	v_add_f64 v[36:37], v[100:101], v[38:39]
	v_add_f64 v[38:39], v[102:103], v[40:41]
	v_fma_f64 v[72:73], v[76:77], -0.5, v[28:29]
	v_fma_f64 v[74:75], v[78:79], -0.5, v[30:31]
	v_add_f64 v[76:77], v[44:45], -v[48:49]
	v_add_f64 v[28:29], v[85:86], v[56:57]
	v_fma_f64 v[78:79], v[81:82], -0.5, v[32:33]
	v_add_f64 v[81:82], v[42:43], -v[46:47]
	v_fma_f64 v[83:84], v[83:84], -0.5, v[34:35]
	v_add_f64 v[30:31], v[54:55], v[58:59]
	v_add_f64 v[40:41], v[104:105], v[46:47]
	;; [unrolled: 1-line block ×5, first 2 shown]
	v_fma_f64 v[44:45], v[94:95], s[0:1], v[20:21]
	v_fma_f64 v[48:49], v[94:95], s[4:5], v[20:21]
	;; [unrolled: 1-line block ×16, first 2 shown]
	v_and_b32_e32 v68, 0xffff, v91
	v_lshlrev_b32_e32 v72, 4, v111
	v_mul_u32_u24_e32 v69, 0xcc0, v108
	v_lshlrev_b32_e32 v73, 4, v87
	v_mul_u32_u24_e32 v70, 0xcc0, v109
	v_mul_u32_u24_e32 v68, 0xcc0, v68
	v_mul_u32_u24_e32 v71, 0xcc0, v110
	v_lshlrev_b32_e32 v74, 4, v112
	v_lshlrev_b32_e32 v75, 4, v113
	v_add3_u32 v69, 0, v69, v73
	v_add3_u32 v68, 0, v68, v72
	v_cmp_gt_u32_e64 s0, 34, v90
	v_add3_u32 v70, 0, v70, v74
	v_add3_u32 v71, 0, v71, v75
	ds_store_b128 v68, v[28:31]
	ds_store_b128 v68, v[44:47] offset:1088
	ds_store_b128 v68, v[48:51] offset:2176
	ds_store_b128 v69, v[32:35]
	ds_store_b128 v69, v[52:55] offset:1088
	ds_store_b128 v69, v[56:59] offset:2176
	;; [unrolled: 3-line block ×4, first 2 shown]
	s_waitcnt lgkmcnt(0)
	s_barrier
	buffer_gl0_inv
	ds_load_b128 v[40:43], v220
	ds_load_b128 v[60:63], v220 offset:3264
	ds_load_b128 v[48:51], v220 offset:6528
	;; [unrolled: 1-line block ×9, first 2 shown]
                                        ; implicit-def: $vgpr38_vgpr39
                                        ; implicit-def: $vgpr30_vgpr31
                                        ; implicit-def: $vgpr34_vgpr35
	s_and_saveexec_b32 s1, s0
	s_cbranch_execz .LBB0_23
; %bb.22:
	ds_load_b128 v[20:23], v220 offset:2720
	ds_load_b128 v[24:27], v220 offset:5984
	;; [unrolled: 1-line block ×10, first 2 shown]
.LBB0_23:
	s_or_b32 exec_lo, exec_lo, s1
	v_mul_u32_u24_e32 v81, 9, v90
	s_mov_b32 s4, 0x134454ff
	s_mov_b32 s5, 0x3fee6f0e
	;; [unrolled: 1-line block ×4, first 2 shown]
	v_lshlrev_b32_e32 v85, 4, v81
	s_mov_b32 s12, 0x4755a5e
	s_mov_b32 s13, 0x3fe2cf23
	;; [unrolled: 1-line block ×4, first 2 shown]
	s_clause 0x8
	global_load_b128 v[81:84], v85, s[8:9] offset:3024
	global_load_b128 v[94:97], v85, s[8:9] offset:3056
	;; [unrolled: 1-line block ×9, first 2 shown]
	s_mov_b32 s16, 0x372fe950
	s_mov_b32 s17, 0x3fd3c6ef
	;; [unrolled: 1-line block ×4, first 2 shown]
	s_waitcnt vmcnt(0) lgkmcnt(0)
	s_barrier
	buffer_gl0_inv
	v_mul_f64 v[85:86], v[70:71], v[83:84]
	v_mul_f64 v[83:84], v[68:69], v[83:84]
	;; [unrolled: 1-line block ×10, first 2 shown]
	v_fma_f64 v[68:69], v[68:69], v[81:82], -v[85:86]
	v_fma_f64 v[70:71], v[70:71], v[81:82], v[83:84]
	v_fma_f64 v[72:73], v[72:73], v[94:95], -v[126:127]
	v_fma_f64 v[74:75], v[74:75], v[94:95], v[96:97]
	v_fma_f64 v[66:67], v[66:67], v[98:99], v[128:129]
	;; [unrolled: 1-line block ×3, first 2 shown]
	v_fma_f64 v[64:65], v[64:65], v[98:99], -v[100:101]
	v_fma_f64 v[76:77], v[76:77], v[102:103], -v[104:105]
	v_mul_f64 v[81:82], v[50:51], v[112:113]
	v_mul_f64 v[83:84], v[48:49], v[112:113]
	;; [unrolled: 1-line block ×8, first 2 shown]
	v_fma_f64 v[60:61], v[60:61], v[106:107], -v[132:133]
	v_fma_f64 v[62:63], v[62:63], v[106:107], v[108:109]
	v_add_f64 v[116:117], v[72:73], -v[68:69]
	v_add_f64 v[120:121], v[70:71], -v[74:75]
	v_add_f64 v[104:105], v[74:75], v[66:67]
	v_add_f64 v[106:107], v[70:71], v[78:79]
	;; [unrolled: 1-line block ×4, first 2 shown]
	v_fma_f64 v[48:49], v[48:49], v[110:111], -v[81:82]
	v_fma_f64 v[50:51], v[50:51], v[110:111], v[83:84]
	v_fma_f64 v[52:53], v[52:53], v[114:115], -v[85:86]
	v_fma_f64 v[54:55], v[54:55], v[114:115], v[94:95]
	v_fma_f64 v[44:45], v[44:45], v[118:119], -v[96:97]
	v_fma_f64 v[56:57], v[56:57], v[122:123], -v[98:99]
	v_fma_f64 v[46:47], v[46:47], v[118:119], v[100:101]
	v_fma_f64 v[58:59], v[58:59], v[122:123], v[102:103]
	v_add_f64 v[81:82], v[70:71], -v[78:79]
	v_add_f64 v[85:86], v[68:69], -v[76:77]
	;; [unrolled: 1-line block ×9, first 2 shown]
	v_fma_f64 v[96:97], v[104:105], -0.5, v[62:63]
	v_fma_f64 v[98:99], v[106:107], -0.5, v[62:63]
	;; [unrolled: 1-line block ×4, first 2 shown]
	v_add_f64 v[112:113], v[68:69], -v[72:73]
	v_add_f64 v[136:137], v[40:41], v[48:49]
	v_add_f64 v[142:143], v[42:43], v[50:51]
	;; [unrolled: 1-line block ×8, first 2 shown]
	v_add_f64 v[138:139], v[50:51], -v[58:59]
	v_add_f64 v[140:141], v[54:55], -v[46:47]
	;; [unrolled: 1-line block ×4, first 2 shown]
	v_fma_f64 v[128:129], v[85:86], s[10:11], v[96:97]
	v_fma_f64 v[130:131], v[94:95], s[4:5], v[98:99]
	;; [unrolled: 1-line block ×8, first 2 shown]
	v_fma_f64 v[68:69], v[104:105], -0.5, v[40:41]
	v_fma_f64 v[40:41], v[106:107], -0.5, v[40:41]
	;; [unrolled: 1-line block ×4, first 2 shown]
	v_add_f64 v[104:105], v[112:113], v[114:115]
	v_add_f64 v[106:107], v[116:117], v[118:119]
	;; [unrolled: 1-line block ×6, first 2 shown]
	v_add_f64 v[120:121], v[58:59], -v[46:47]
	v_add_f64 v[122:123], v[46:47], -v[58:59]
	v_fma_f64 v[112:113], v[94:95], s[14:15], v[128:129]
	v_fma_f64 v[114:115], v[85:86], s[14:15], v[130:131]
	;; [unrolled: 1-line block ×8, first 2 shown]
	v_add_f64 v[96:97], v[48:49], -v[52:53]
	v_add_f64 v[48:49], v[52:53], -v[48:49]
	;; [unrolled: 1-line block ×4, first 2 shown]
	v_add_f64 v[52:53], v[136:137], v[52:53]
	v_add_f64 v[54:55], v[142:143], v[54:55]
	v_add_f64 v[98:99], v[56:57], -v[44:45]
	v_add_f64 v[100:101], v[44:45], -v[56:57]
	v_fma_f64 v[72:73], v[138:139], s[4:5], v[68:69]
	v_fma_f64 v[68:69], v[138:139], s[10:11], v[68:69]
	;; [unrolled: 1-line block ×16, first 2 shown]
	v_add_f64 v[50:51], v[50:51], v[122:123]
	v_add_f64 v[44:45], v[52:53], v[44:45]
	;; [unrolled: 1-line block ×8, first 2 shown]
	v_fma_f64 v[60:61], v[140:141], s[12:13], v[72:73]
	v_fma_f64 v[62:63], v[140:141], s[14:15], v[68:69]
	;; [unrolled: 1-line block ×8, first 2 shown]
	v_mul_f64 v[72:73], v[112:113], s[12:13]
	v_mul_f64 v[74:75], v[114:115], s[4:5]
	;; [unrolled: 1-line block ×8, first 2 shown]
	v_add_f64 v[44:45], v[44:45], v[56:57]
	v_add_f64 v[46:47], v[46:47], v[58:59]
	;; [unrolled: 1-line block ×4, first 2 shown]
	v_fma_f64 v[76:77], v[96:97], s[16:17], v[60:61]
	v_fma_f64 v[78:79], v[96:97], s[16:17], v[62:63]
	;; [unrolled: 1-line block ×10, first 2 shown]
	v_fma_f64 v[74:75], v[94:95], s[12:13], -v[102:103]
	v_fma_f64 v[81:82], v[112:113], s[18:19], v[104:105]
	v_fma_f64 v[72:73], v[85:86], s[4:5], -v[100:101]
	v_fma_f64 v[83:84], v[114:115], s[16:17], v[106:107]
	v_fma_f64 v[85:86], v[116:117], s[10:11], -v[108:109]
	v_fma_f64 v[94:95], v[118:119], s[14:15], -v[110:111]
	v_add_f64 v[40:41], v[44:45], v[52:53]
	v_add_f64 v[42:43], v[46:47], v[54:55]
	v_add_f64 v[44:45], v[44:45], -v[52:53]
	v_add_f64 v[46:47], v[46:47], -v[54:55]
	v_add_f64 v[48:49], v[76:77], v[64:65]
	v_add_f64 v[52:53], v[96:97], v[68:69]
	;; [unrolled: 1-line block ×8, first 2 shown]
	v_add_f64 v[64:65], v[76:77], -v[64:65]
	v_add_f64 v[66:67], v[66:67], -v[81:82]
	;; [unrolled: 1-line block ×8, first 2 shown]
	ds_store_b128 v220, v[40:43]
	ds_store_b128 v220, v[48:51] offset:3264
	ds_store_b128 v220, v[52:55] offset:6528
	;; [unrolled: 1-line block ×9, first 2 shown]
	s_and_saveexec_b32 s1, s0
	s_cbranch_execz .LBB0_25
; %bb.24:
	v_subrev_nc_u32_e32 v40, 34, v90
	v_mov_b32_e32 v41, 0
	s_delay_alu instid0(VALU_DEP_2) | instskip(NEXT) | instid1(VALU_DEP_1)
	v_cndmask_b32_e64 v40, v40, v80, s0
	v_mul_i32_i24_e32 v40, 9, v40
	s_delay_alu instid0(VALU_DEP_1) | instskip(NEXT) | instid1(VALU_DEP_1)
	v_lshlrev_b64 v[40:41], 4, v[40:41]
	v_add_co_u32 v72, s0, s8, v40
	s_delay_alu instid0(VALU_DEP_1)
	v_add_co_ci_u32_e64 v73, s0, s9, v41, s0
	s_clause 0x8
	global_load_b128 v[40:43], v[72:73], off offset:3024
	global_load_b128 v[44:47], v[72:73], off offset:3056
	;; [unrolled: 1-line block ×9, first 2 shown]
	s_waitcnt vmcnt(8)
	v_mul_f64 v[76:77], v[18:19], v[42:43]
	v_mul_f64 v[42:43], v[16:17], v[42:43]
	s_waitcnt vmcnt(7)
	v_mul_f64 v[78:79], v[8:9], v[46:47]
	s_waitcnt vmcnt(6)
	;; [unrolled: 2-line block ×3, first 2 shown]
	v_mul_f64 v[82:83], v[36:37], v[54:55]
	v_mul_f64 v[54:55], v[38:39], v[54:55]
	;; [unrolled: 1-line block ×4, first 2 shown]
	s_waitcnt vmcnt(4)
	v_mul_f64 v[84:85], v[26:27], v[58:59]
	v_mul_f64 v[58:59], v[24:25], v[58:59]
	v_fma_f64 v[16:17], v[16:17], v[40:41], -v[76:77]
	v_fma_f64 v[18:19], v[18:19], v[40:41], v[42:43]
	v_fma_f64 v[10:11], v[10:11], v[44:45], v[78:79]
	;; [unrolled: 1-line block ×4, first 2 shown]
	v_fma_f64 v[36:37], v[36:37], v[52:53], -v[54:55]
	v_fma_f64 v[8:9], v[8:9], v[44:45], -v[46:47]
	;; [unrolled: 1-line block ×3, first 2 shown]
	s_waitcnt vmcnt(3)
	v_mul_f64 v[40:41], v[4:5], v[62:63]
	s_waitcnt vmcnt(2)
	v_mul_f64 v[42:43], v[0:1], v[66:67]
	;; [unrolled: 2-line block ×4, first 2 shown]
	v_mul_f64 v[48:49], v[6:7], v[62:63]
	v_mul_f64 v[50:51], v[2:3], v[66:67]
	;; [unrolled: 1-line block ×3, first 2 shown]
	v_fma_f64 v[24:25], v[24:25], v[56:57], -v[84:85]
	v_fma_f64 v[26:27], v[26:27], v[56:57], v[58:59]
	v_mul_f64 v[62:63], v[30:31], v[74:75]
	v_add_f64 v[54:55], v[10:11], v[34:35]
	v_add_f64 v[56:57], v[18:19], v[38:39]
	v_add_f64 v[58:59], v[16:17], v[36:37]
	v_add_f64 v[70:71], v[34:35], -v[38:39]
	v_add_f64 v[66:67], v[8:9], v[32:33]
	v_fma_f64 v[6:7], v[6:7], v[60:61], v[40:41]
	v_fma_f64 v[2:3], v[2:3], v[64:65], v[42:43]
	;; [unrolled: 1-line block ×4, first 2 shown]
	v_fma_f64 v[4:5], v[4:5], v[60:61], -v[48:49]
	v_fma_f64 v[0:1], v[0:1], v[64:65], -v[50:51]
	;; [unrolled: 1-line block ×3, first 2 shown]
	v_add_f64 v[40:41], v[10:11], -v[34:35]
	v_add_f64 v[42:43], v[8:9], -v[32:33]
	;; [unrolled: 1-line block ×3, first 2 shown]
	v_fma_f64 v[28:29], v[28:29], v[72:73], -v[62:63]
	v_add_f64 v[52:53], v[18:19], -v[38:39]
	v_add_f64 v[60:61], v[38:39], -v[34:35]
	;; [unrolled: 1-line block ×6, first 2 shown]
	v_add_f64 v[16:17], v[24:25], v[16:17]
	v_fma_f64 v[46:47], v[54:55], -0.5, v[26:27]
	v_fma_f64 v[48:49], v[56:57], -0.5, v[26:27]
	;; [unrolled: 1-line block ×3, first 2 shown]
	v_add_f64 v[58:59], v[18:19], -v[10:11]
	v_fma_f64 v[54:55], v[66:67], -0.5, v[24:25]
	v_add_f64 v[66:67], v[32:33], -v[36:37]
	v_add_f64 v[56:57], v[6:7], v[2:3]
	v_add_f64 v[98:99], v[22:23], v[14:15]
	v_add_f64 v[62:63], v[14:15], v[30:31]
	v_add_f64 v[18:19], v[26:27], v[18:19]
	v_add_f64 v[72:73], v[4:5], v[0:1]
	v_add_f64 v[102:103], v[20:21], v[12:13]
	v_add_f64 v[94:95], v[4:5], -v[0:1]
	v_add_f64 v[26:27], v[14:15], -v[30:31]
	;; [unrolled: 1-line block ×3, first 2 shown]
	v_add_f64 v[80:81], v[12:13], v[28:29]
	v_add_f64 v[96:97], v[12:13], -v[28:29]
	v_add_f64 v[8:9], v[16:17], v[8:9]
	v_fma_f64 v[74:75], v[44:45], s[4:5], v[46:47]
	v_fma_f64 v[76:77], v[42:43], s[10:11], v[48:49]
	;; [unrolled: 1-line block ×8, first 2 shown]
	v_fma_f64 v[24:25], v[56:57], -0.5, v[22:23]
	v_add_f64 v[56:57], v[58:59], v[60:61]
	v_fma_f64 v[22:23], v[62:63], -0.5, v[22:23]
	v_add_f64 v[58:59], v[64:65], v[66:67]
	v_add_f64 v[60:61], v[68:69], v[70:71]
	v_fma_f64 v[62:63], v[72:73], -0.5, v[20:21]
	v_add_f64 v[70:71], v[82:83], v[84:85]
	v_fma_f64 v[20:21], v[80:81], -0.5, v[20:21]
	v_add_f64 v[10:11], v[18:19], v[10:11]
	v_fma_f64 v[64:65], v[42:43], s[12:13], v[74:75]
	v_fma_f64 v[66:67], v[44:45], s[12:13], v[76:77]
	v_fma_f64 v[68:69], v[52:53], s[12:13], v[78:79]
	v_fma_f64 v[42:43], v[42:43], s[14:15], v[46:47]
	v_fma_f64 v[72:73], v[40:41], s[12:13], v[86:87]
	v_fma_f64 v[44:45], v[44:45], s[14:15], v[48:49]
	v_fma_f64 v[46:47], v[52:53], s[14:15], v[50:51]
	v_fma_f64 v[40:41], v[40:41], s[14:15], v[54:55]
	v_add_f64 v[48:49], v[14:15], -v[6:7]
	v_add_f64 v[14:15], v[6:7], -v[14:15]
	;; [unrolled: 1-line block ×4, first 2 shown]
	v_add_f64 v[6:7], v[98:99], v[6:7]
	v_add_f64 v[4:5], v[102:103], v[4:5]
	v_add_f64 v[50:51], v[30:31], -v[2:3]
	v_add_f64 v[52:53], v[2:3], -v[30:31]
	;; [unrolled: 1-line block ×3, first 2 shown]
	v_fma_f64 v[16:17], v[96:97], s[4:5], v[24:25]
	v_fma_f64 v[18:19], v[94:95], s[10:11], v[22:23]
	v_fma_f64 v[22:23], v[94:95], s[4:5], v[22:23]
	v_fma_f64 v[24:25], v[96:97], s[10:11], v[24:25]
	v_fma_f64 v[78:79], v[26:27], s[10:11], v[62:63]
	v_fma_f64 v[80:81], v[100:101], s[4:5], v[20:21]
	v_fma_f64 v[20:21], v[100:101], s[10:11], v[20:21]
	v_fma_f64 v[62:63], v[26:27], s[4:5], v[62:63]
	v_add_f64 v[76:77], v[0:1], -v[28:29]
	v_fma_f64 v[64:65], v[56:57], s[16:17], v[64:65]
	v_fma_f64 v[66:67], v[60:61], s[16:17], v[66:67]
	;; [unrolled: 1-line block ×8, first 2 shown]
	v_add_f64 v[2:3], v[6:7], v[2:3]
	v_add_f64 v[6:7], v[10:11], v[34:35]
	;; [unrolled: 1-line block ×7, first 2 shown]
	v_fma_f64 v[8:9], v[94:95], s[12:13], v[16:17]
	v_fma_f64 v[10:11], v[96:97], s[12:13], v[18:19]
	;; [unrolled: 1-line block ×8, first 2 shown]
	v_add_f64 v[12:13], v[12:13], v[76:77]
	v_mul_f64 v[24:25], v[64:65], s[18:19]
	v_mul_f64 v[32:33], v[66:67], s[16:17]
	;; [unrolled: 1-line block ×8, first 2 shown]
	v_add_f64 v[30:31], v[2:3], v[30:31]
	v_add_f64 v[6:7], v[6:7], v[38:39]
	;; [unrolled: 1-line block ×4, first 2 shown]
	v_fma_f64 v[8:9], v[48:49], s[16:17], v[8:9]
	v_fma_f64 v[36:37], v[14:15], s[16:17], v[10:11]
	;; [unrolled: 1-line block ×5, first 2 shown]
	v_fma_f64 v[22:23], v[40:41], s[14:15], -v[24:25]
	v_fma_f64 v[24:25], v[46:47], s[10:11], -v[32:33]
	v_fma_f64 v[32:33], v[44:45], s[16:17], v[34:35]
	v_fma_f64 v[44:45], v[50:51], s[16:17], v[26:27]
	v_fma_f64 v[42:43], v[42:43], s[18:19], v[54:55]
	v_fma_f64 v[46:47], v[72:73], s[18:19], v[56:57]
	v_fma_f64 v[40:41], v[12:13], s[16:17], v[52:53]
	v_fma_f64 v[12:13], v[12:13], s[16:17], v[20:21]
	v_fma_f64 v[50:51], v[68:69], s[16:17], v[58:59]
	v_fma_f64 v[52:53], v[66:67], s[4:5], -v[60:61]
	v_fma_f64 v[54:55], v[64:65], s[12:13], -v[62:63]
	v_add_f64 v[2:3], v[30:31], -v[6:7]
	v_add_f64 v[6:7], v[30:31], v[6:7]
	v_add_f64 v[0:1], v[28:29], -v[4:5]
	v_add_f64 v[4:5], v[28:29], v[4:5]
	v_add_f64 v[10:11], v[8:9], -v[22:23]
	v_add_f64 v[14:15], v[36:37], -v[24:25]
	;; [unrolled: 1-line block ×3, first 2 shown]
	v_add_f64 v[30:31], v[16:17], v[32:33]
	v_add_f64 v[34:35], v[38:39], v[42:43]
	;; [unrolled: 1-line block ×8, first 2 shown]
	v_add_f64 v[38:39], v[38:39], -v[42:43]
	v_add_f64 v[36:37], v[44:45], -v[46:47]
	;; [unrolled: 1-line block ×5, first 2 shown]
	ds_store_b128 v220, v[4:7] offset:2720
	ds_store_b128 v220, v[32:35] offset:5984
	;; [unrolled: 1-line block ×10, first 2 shown]
.LBB0_25:
	s_or_b32 exec_lo, exec_lo, s1
	s_waitcnt lgkmcnt(0)
	s_barrier
	buffer_gl0_inv
	s_and_saveexec_b32 s0, vcc_lo
	s_cbranch_execz .LBB0_27
; %bb.26:
	v_mul_lo_u32 v2, s3, v92
	v_mul_lo_u32 v3, s2, v93
	v_mad_u64_u32 v[0:1], null, s2, v92, 0
	v_lshl_add_u32 v34, v90, 4, 0
	v_dual_mov_b32 v91, 0 :: v_dual_add_nc_u32 v12, 0xaa, v90
	v_lshlrev_b64 v[8:9], 4, v[88:89]
	v_add_nc_u32_e32 v22, 0x352, v90
	s_delay_alu instid0(VALU_DEP_3) | instskip(SKIP_4) | instid1(VALU_DEP_4)
	v_dual_mov_b32 v25, v91 :: v_dual_add_nc_u32 v24, 0x3fc, v90
	v_add3_u32 v1, v1, v3, v2
	v_mov_b32_e32 v13, v91
	v_lshlrev_b64 v[14:15], 4, v[90:91]
	v_mov_b32_e32 v23, v91
	v_lshlrev_b64 v[10:11], 4, v[0:1]
	ds_load_b128 v[0:3], v34
	ds_load_b128 v[4:7], v34 offset:2720
	v_lshlrev_b64 v[22:23], 4, v[22:23]
	v_add_co_u32 v10, vcc_lo, s6, v10
	v_add_co_ci_u32_e32 v11, vcc_lo, s7, v11, vcc_lo
	s_delay_alu instid0(VALU_DEP_2) | instskip(NEXT) | instid1(VALU_DEP_2)
	v_add_co_u32 v36, vcc_lo, v10, v8
	v_add_co_ci_u32_e32 v37, vcc_lo, v11, v9, vcc_lo
	v_lshlrev_b64 v[8:9], 4, v[12:13]
	v_add_nc_u32_e32 v12, 0x154, v90
	s_delay_alu instid0(VALU_DEP_4) | instskip(NEXT) | instid1(VALU_DEP_4)
	v_add_co_u32 v10, vcc_lo, v36, v14
	v_add_co_ci_u32_e32 v11, vcc_lo, v37, v15, vcc_lo
	s_delay_alu instid0(VALU_DEP_4)
	v_add_co_u32 v8, vcc_lo, v36, v8
	v_add_co_ci_u32_e32 v9, vcc_lo, v37, v9, vcc_lo
	s_waitcnt lgkmcnt(1)
	global_store_b128 v[10:11], v[0:3], off
	s_waitcnt lgkmcnt(0)
	global_store_b128 v[8:9], v[4:7], off
	v_lshlrev_b64 v[0:1], 4, v[12:13]
	v_dual_mov_b32 v9, v91 :: v_dual_add_nc_u32 v8, 0x1fe, v90
	v_dual_mov_b32 v11, v91 :: v_dual_add_nc_u32 v10, 0x2a8, v90
	s_delay_alu instid0(VALU_DEP_3) | instskip(NEXT) | instid1(VALU_DEP_4)
	v_add_co_u32 v16, vcc_lo, v36, v0
	v_add_co_ci_u32_e32 v17, vcc_lo, v37, v1, vcc_lo
	ds_load_b128 v[0:3], v34 offset:5440
	ds_load_b128 v[4:7], v34 offset:8160
	v_lshlrev_b64 v[18:19], 4, v[8:9]
	v_lshlrev_b64 v[20:21], 4, v[10:11]
	ds_load_b128 v[8:11], v34 offset:10880
	ds_load_b128 v[12:15], v34 offset:13600
	v_add_co_u32 v18, vcc_lo, v36, v18
	v_add_co_ci_u32_e32 v19, vcc_lo, v37, v19, vcc_lo
	v_add_co_u32 v20, vcc_lo, v36, v20
	v_add_co_ci_u32_e32 v21, vcc_lo, v37, v21, vcc_lo
	v_add_co_u32 v22, vcc_lo, v36, v22
	s_waitcnt lgkmcnt(3)
	global_store_b128 v[16:17], v[0:3], off
	s_waitcnt lgkmcnt(2)
	global_store_b128 v[18:19], v[4:7], off
	v_dual_mov_b32 v3, v91 :: v_dual_add_nc_u32 v2, 0x4a6, v90
	v_add_co_ci_u32_e32 v23, vcc_lo, v37, v23, vcc_lo
	v_lshlrev_b64 v[0:1], 4, v[24:25]
	s_waitcnt lgkmcnt(1)
	global_store_b128 v[20:21], v[8:11], off
	s_waitcnt lgkmcnt(0)
	global_store_b128 v[22:23], v[12:15], off
	v_lshlrev_b64 v[8:9], 4, v[2:3]
	v_dual_mov_b32 v11, v91 :: v_dual_add_nc_u32 v10, 0x550, v90
	v_add_co_u32 v24, vcc_lo, v36, v0
	v_add_co_ci_u32_e32 v25, vcc_lo, v37, v1, vcc_lo
	s_delay_alu instid0(VALU_DEP_4)
	v_add_co_u32 v26, vcc_lo, v36, v8
	v_add_co_ci_u32_e32 v27, vcc_lo, v37, v9, vcc_lo
	v_lshlrev_b64 v[8:9], 4, v[10:11]
	v_dual_mov_b32 v17, v91 :: v_dual_add_nc_u32 v16, 0x5fa, v90
	v_dual_mov_b32 v19, v91 :: v_dual_add_nc_u32 v18, 0x6a4, v90
	ds_load_b128 v[0:3], v34 offset:16320
	ds_load_b128 v[4:7], v34 offset:19040
	v_add_co_u32 v28, vcc_lo, v36, v8
	v_add_co_ci_u32_e32 v29, vcc_lo, v37, v9, vcc_lo
	ds_load_b128 v[8:11], v34 offset:21760
	ds_load_b128 v[12:15], v34 offset:24480
	v_lshlrev_b64 v[30:31], 4, v[16:17]
	v_lshlrev_b64 v[32:33], 4, v[18:19]
	ds_load_b128 v[16:19], v34 offset:27200
	ds_load_b128 v[20:23], v34 offset:29920
	v_add_nc_u32_e32 v90, 0x74e, v90
	v_add_co_u32 v30, vcc_lo, v36, v30
	s_delay_alu instid0(VALU_DEP_2) | instskip(SKIP_3) | instid1(VALU_DEP_4)
	v_lshlrev_b64 v[34:35], 4, v[90:91]
	v_add_co_ci_u32_e32 v31, vcc_lo, v37, v31, vcc_lo
	v_add_co_u32 v32, vcc_lo, v36, v32
	v_add_co_ci_u32_e32 v33, vcc_lo, v37, v33, vcc_lo
	v_add_co_u32 v34, vcc_lo, v36, v34
	v_add_co_ci_u32_e32 v35, vcc_lo, v37, v35, vcc_lo
	s_waitcnt lgkmcnt(5)
	global_store_b128 v[24:25], v[0:3], off
	s_waitcnt lgkmcnt(4)
	global_store_b128 v[26:27], v[4:7], off
	;; [unrolled: 2-line block ×6, first 2 shown]
.LBB0_27:
	s_nop 0
	s_sendmsg sendmsg(MSG_DEALLOC_VGPRS)
	s_endpgm
	.section	.rodata,"a",@progbits
	.p2align	6, 0x0
	.amdhsa_kernel fft_rtc_fwd_len2040_factors_17_4_3_10_wgs_170_tpt_170_halfLds_dp_op_CI_CI_unitstride_sbrr_C2R_dirReg
		.amdhsa_group_segment_fixed_size 0
		.amdhsa_private_segment_fixed_size 268
		.amdhsa_kernarg_size 104
		.amdhsa_user_sgpr_count 15
		.amdhsa_user_sgpr_dispatch_ptr 0
		.amdhsa_user_sgpr_queue_ptr 0
		.amdhsa_user_sgpr_kernarg_segment_ptr 1
		.amdhsa_user_sgpr_dispatch_id 0
		.amdhsa_user_sgpr_private_segment_size 0
		.amdhsa_wavefront_size32 1
		.amdhsa_uses_dynamic_stack 0
		.amdhsa_enable_private_segment 1
		.amdhsa_system_sgpr_workgroup_id_x 1
		.amdhsa_system_sgpr_workgroup_id_y 0
		.amdhsa_system_sgpr_workgroup_id_z 0
		.amdhsa_system_sgpr_workgroup_info 0
		.amdhsa_system_vgpr_workitem_id 0
		.amdhsa_next_free_vgpr 256
		.amdhsa_next_free_sgpr 58
		.amdhsa_reserve_vcc 1
		.amdhsa_float_round_mode_32 0
		.amdhsa_float_round_mode_16_64 0
		.amdhsa_float_denorm_mode_32 3
		.amdhsa_float_denorm_mode_16_64 3
		.amdhsa_dx10_clamp 1
		.amdhsa_ieee_mode 1
		.amdhsa_fp16_overflow 0
		.amdhsa_workgroup_processor_mode 1
		.amdhsa_memory_ordered 1
		.amdhsa_forward_progress 0
		.amdhsa_shared_vgpr_count 0
		.amdhsa_exception_fp_ieee_invalid_op 0
		.amdhsa_exception_fp_denorm_src 0
		.amdhsa_exception_fp_ieee_div_zero 0
		.amdhsa_exception_fp_ieee_overflow 0
		.amdhsa_exception_fp_ieee_underflow 0
		.amdhsa_exception_fp_ieee_inexact 0
		.amdhsa_exception_int_div_zero 0
	.end_amdhsa_kernel
	.text
.Lfunc_end0:
	.size	fft_rtc_fwd_len2040_factors_17_4_3_10_wgs_170_tpt_170_halfLds_dp_op_CI_CI_unitstride_sbrr_C2R_dirReg, .Lfunc_end0-fft_rtc_fwd_len2040_factors_17_4_3_10_wgs_170_tpt_170_halfLds_dp_op_CI_CI_unitstride_sbrr_C2R_dirReg
                                        ; -- End function
	.section	.AMDGPU.csdata,"",@progbits
; Kernel info:
; codeLenInByte = 18456
; NumSgprs: 60
; NumVgprs: 256
; ScratchSize: 268
; MemoryBound: 0
; FloatMode: 240
; IeeeMode: 1
; LDSByteSize: 0 bytes/workgroup (compile time only)
; SGPRBlocks: 7
; VGPRBlocks: 31
; NumSGPRsForWavesPerEU: 60
; NumVGPRsForWavesPerEU: 256
; Occupancy: 5
; WaveLimiterHint : 1
; COMPUTE_PGM_RSRC2:SCRATCH_EN: 1
; COMPUTE_PGM_RSRC2:USER_SGPR: 15
; COMPUTE_PGM_RSRC2:TRAP_HANDLER: 0
; COMPUTE_PGM_RSRC2:TGID_X_EN: 1
; COMPUTE_PGM_RSRC2:TGID_Y_EN: 0
; COMPUTE_PGM_RSRC2:TGID_Z_EN: 0
; COMPUTE_PGM_RSRC2:TIDIG_COMP_CNT: 0
	.text
	.p2alignl 7, 3214868480
	.fill 96, 4, 3214868480
	.type	__hip_cuid_9624c499b018ae32,@object ; @__hip_cuid_9624c499b018ae32
	.section	.bss,"aw",@nobits
	.globl	__hip_cuid_9624c499b018ae32
__hip_cuid_9624c499b018ae32:
	.byte	0                               ; 0x0
	.size	__hip_cuid_9624c499b018ae32, 1

	.ident	"AMD clang version 19.0.0git (https://github.com/RadeonOpenCompute/llvm-project roc-6.4.0 25133 c7fe45cf4b819c5991fe208aaa96edf142730f1d)"
	.section	".note.GNU-stack","",@progbits
	.addrsig
	.addrsig_sym __hip_cuid_9624c499b018ae32
	.amdgpu_metadata
---
amdhsa.kernels:
  - .args:
      - .actual_access:  read_only
        .address_space:  global
        .offset:         0
        .size:           8
        .value_kind:     global_buffer
      - .offset:         8
        .size:           8
        .value_kind:     by_value
      - .actual_access:  read_only
        .address_space:  global
        .offset:         16
        .size:           8
        .value_kind:     global_buffer
      - .actual_access:  read_only
        .address_space:  global
        .offset:         24
        .size:           8
        .value_kind:     global_buffer
      - .actual_access:  read_only
        .address_space:  global
        .offset:         32
        .size:           8
        .value_kind:     global_buffer
      - .offset:         40
        .size:           8
        .value_kind:     by_value
      - .actual_access:  read_only
        .address_space:  global
        .offset:         48
        .size:           8
        .value_kind:     global_buffer
      - .actual_access:  read_only
        .address_space:  global
        .offset:         56
        .size:           8
        .value_kind:     global_buffer
      - .offset:         64
        .size:           4
        .value_kind:     by_value
      - .actual_access:  read_only
        .address_space:  global
        .offset:         72
        .size:           8
        .value_kind:     global_buffer
      - .actual_access:  read_only
        .address_space:  global
        .offset:         80
        .size:           8
        .value_kind:     global_buffer
      - .actual_access:  read_only
        .address_space:  global
        .offset:         88
        .size:           8
        .value_kind:     global_buffer
      - .actual_access:  write_only
        .address_space:  global
        .offset:         96
        .size:           8
        .value_kind:     global_buffer
    .group_segment_fixed_size: 0
    .kernarg_segment_align: 8
    .kernarg_segment_size: 104
    .language:       OpenCL C
    .language_version:
      - 2
      - 0
    .max_flat_workgroup_size: 170
    .name:           fft_rtc_fwd_len2040_factors_17_4_3_10_wgs_170_tpt_170_halfLds_dp_op_CI_CI_unitstride_sbrr_C2R_dirReg
    .private_segment_fixed_size: 268
    .sgpr_count:     60
    .sgpr_spill_count: 0
    .symbol:         fft_rtc_fwd_len2040_factors_17_4_3_10_wgs_170_tpt_170_halfLds_dp_op_CI_CI_unitstride_sbrr_C2R_dirReg.kd
    .uniform_work_group_size: 1
    .uses_dynamic_stack: false
    .vgpr_count:     256
    .vgpr_spill_count: 66
    .wavefront_size: 32
    .workgroup_processor_mode: 1
amdhsa.target:   amdgcn-amd-amdhsa--gfx1100
amdhsa.version:
  - 1
  - 2
...

	.end_amdgpu_metadata
